;; amdgpu-corpus repo=ROCm/hipCUB kind=compiled arch=gfx1100 opt=O3
	.text
	.amdgcn_target "amdgcn-amd-amdhsa--gfx1100"
	.amdhsa_code_object_version 6
	.section	.text._Z6kernelI6reduceILN6hipcub20BlockReduceAlgorithmE0EEiLj64ELj1ELj100EEvPKT0_PS4_,"axG",@progbits,_Z6kernelI6reduceILN6hipcub20BlockReduceAlgorithmE0EEiLj64ELj1ELj100EEvPKT0_PS4_,comdat
	.protected	_Z6kernelI6reduceILN6hipcub20BlockReduceAlgorithmE0EEiLj64ELj1ELj100EEvPKT0_PS4_ ; -- Begin function _Z6kernelI6reduceILN6hipcub20BlockReduceAlgorithmE0EEiLj64ELj1ELj100EEvPKT0_PS4_
	.globl	_Z6kernelI6reduceILN6hipcub20BlockReduceAlgorithmE0EEiLj64ELj1ELj100EEvPKT0_PS4_
	.p2align	8
	.type	_Z6kernelI6reduceILN6hipcub20BlockReduceAlgorithmE0EEiLj64ELj1ELj100EEvPKT0_PS4_,@function
_Z6kernelI6reduceILN6hipcub20BlockReduceAlgorithmE0EEiLj64ELj1ELj100EEvPKT0_PS4_: ; @_Z6kernelI6reduceILN6hipcub20BlockReduceAlgorithmE0EEiLj64ELj1ELj100EEvPKT0_PS4_
; %bb.0:
	s_clause 0x1
	s_load_b32 s5, s[0:1], 0x1c
	s_load_b128 s[0:3], s[0:1], 0x0
	s_mov_b32 s4, s15
	v_mbcnt_lo_u32_b32 v4, -1, 0
	v_lshrrev_b32_e32 v3, 3, v0
	s_delay_alu instid0(VALU_DEP_2) | instskip(NEXT) | instid1(VALU_DEP_2)
	v_and_b32_e32 v5, 1, v4
	v_and_b32_e32 v3, 4, v3
	s_delay_alu instid0(VALU_DEP_2) | instskip(SKIP_2) | instid1(SALU_CYCLE_1)
	v_lshlrev_b32_e32 v5, 2, v5
	s_waitcnt lgkmcnt(0)
	s_and_b32 s5, s5, 0xffff
	v_mad_u64_u32 v[1:2], null, s4, s5, v[0:1]
	v_mov_b32_e32 v2, 0
	s_delay_alu instid0(VALU_DEP_1) | instskip(NEXT) | instid1(VALU_DEP_1)
	v_lshlrev_b64 v[1:2], 2, v[1:2]
	v_add_co_u32 v1, vcc_lo, s0, v1
	s_delay_alu instid0(VALU_DEP_2)
	v_add_co_ci_u32_e32 v2, vcc_lo, s1, v2, vcc_lo
	v_cmp_eq_u32_e32 vcc_lo, 0, v4
	v_cmp_gt_u32_e64 s0, 32, v0
	v_lshl_or_b32 v4, v4, 2, 4
	global_load_b32 v1, v[1:2], off
	v_mov_b32_e32 v2, 0x7c
	s_movk_i32 s1, 0x64
	s_set_inst_prefetch_distance 0x1
	s_branch .LBB0_2
	.p2align	6
.LBB0_1:                                ;   in Loop: Header=BB0_2 Depth=1
	s_or_b32 exec_lo, exec_lo, s5
	s_add_i32 s1, s1, -1
	s_delay_alu instid0(SALU_CYCLE_1)
	s_cmp_eq_u32 s1, 0
	s_cbranch_scc1 .LBB0_6
.LBB0_2:                                ; =>This Inner Loop Header: Depth=1
	s_waitcnt vmcnt(0)
	v_mov_b32_dpp v6, v1 quad_perm:[1,0,3,2] row_mask:0xf bank_mask:0xf
	s_delay_alu instid0(VALU_DEP_1) | instskip(NEXT) | instid1(VALU_DEP_1)
	v_add_nc_u32_e32 v1, v6, v1
	v_mov_b32_dpp v6, v1 quad_perm:[2,3,0,1] row_mask:0xf bank_mask:0xf
	s_delay_alu instid0(VALU_DEP_1) | instskip(NEXT) | instid1(VALU_DEP_1)
	v_add_nc_u32_e32 v1, v1, v6
	v_mov_b32_dpp v6, v1 row_ror:4 row_mask:0xf bank_mask:0xf
	s_delay_alu instid0(VALU_DEP_1) | instskip(NEXT) | instid1(VALU_DEP_1)
	v_add_nc_u32_e32 v1, v1, v6
	v_mov_b32_dpp v6, v1 row_ror:8 row_mask:0xf bank_mask:0xf
	s_delay_alu instid0(VALU_DEP_1)
	v_add_nc_u32_e32 v1, v1, v6
	ds_swizzle_b32 v6, v1 offset:swizzle(BROADCAST,32,15)
	s_waitcnt lgkmcnt(0)
	v_add_nc_u32_e32 v1, v1, v6
	ds_bpermute_b32 v1, v2, v1
	s_and_saveexec_b32 s5, vcc_lo
	s_cbranch_execz .LBB0_4
; %bb.3:                                ;   in Loop: Header=BB0_2 Depth=1
	s_waitcnt lgkmcnt(0)
	ds_store_b32 v3, v1
.LBB0_4:                                ;   in Loop: Header=BB0_2 Depth=1
	s_or_b32 exec_lo, exec_lo, s5
	s_waitcnt lgkmcnt(0)
	s_barrier
	buffer_gl0_inv
	s_and_saveexec_b32 s5, s0
	s_cbranch_execz .LBB0_1
; %bb.5:                                ;   in Loop: Header=BB0_2 Depth=1
	ds_load_b32 v1, v5
	s_waitcnt lgkmcnt(0)
	ds_bpermute_b32 v6, v4, v1
	s_waitcnt lgkmcnt(0)
	v_add_nc_u32_e32 v1, v6, v1
	s_branch .LBB0_1
.LBB0_6:
	s_set_inst_prefetch_distance 0x2
	s_mov_b32 s5, 0
	s_mov_b32 s0, exec_lo
	v_cmpx_eq_u32_e32 0, v0
	s_cbranch_execz .LBB0_8
; %bb.7:
	s_lshl_b64 s[0:1], s[4:5], 2
	v_mov_b32_e32 v0, 0
	s_add_u32 s0, s2, s0
	s_addc_u32 s1, s3, s1
	global_store_b32 v0, v1, s[0:1]
.LBB0_8:
	s_nop 0
	s_sendmsg sendmsg(MSG_DEALLOC_VGPRS)
	s_endpgm
	.section	.rodata,"a",@progbits
	.p2align	6, 0x0
	.amdhsa_kernel _Z6kernelI6reduceILN6hipcub20BlockReduceAlgorithmE0EEiLj64ELj1ELj100EEvPKT0_PS4_
		.amdhsa_group_segment_fixed_size 8
		.amdhsa_private_segment_fixed_size 0
		.amdhsa_kernarg_size 272
		.amdhsa_user_sgpr_count 15
		.amdhsa_user_sgpr_dispatch_ptr 0
		.amdhsa_user_sgpr_queue_ptr 0
		.amdhsa_user_sgpr_kernarg_segment_ptr 1
		.amdhsa_user_sgpr_dispatch_id 0
		.amdhsa_user_sgpr_private_segment_size 0
		.amdhsa_wavefront_size32 1
		.amdhsa_uses_dynamic_stack 0
		.amdhsa_enable_private_segment 0
		.amdhsa_system_sgpr_workgroup_id_x 1
		.amdhsa_system_sgpr_workgroup_id_y 0
		.amdhsa_system_sgpr_workgroup_id_z 0
		.amdhsa_system_sgpr_workgroup_info 0
		.amdhsa_system_vgpr_workitem_id 0
		.amdhsa_next_free_vgpr 7
		.amdhsa_next_free_sgpr 16
		.amdhsa_reserve_vcc 1
		.amdhsa_float_round_mode_32 0
		.amdhsa_float_round_mode_16_64 0
		.amdhsa_float_denorm_mode_32 3
		.amdhsa_float_denorm_mode_16_64 3
		.amdhsa_dx10_clamp 1
		.amdhsa_ieee_mode 1
		.amdhsa_fp16_overflow 0
		.amdhsa_workgroup_processor_mode 1
		.amdhsa_memory_ordered 1
		.amdhsa_forward_progress 0
		.amdhsa_shared_vgpr_count 0
		.amdhsa_exception_fp_ieee_invalid_op 0
		.amdhsa_exception_fp_denorm_src 0
		.amdhsa_exception_fp_ieee_div_zero 0
		.amdhsa_exception_fp_ieee_overflow 0
		.amdhsa_exception_fp_ieee_underflow 0
		.amdhsa_exception_fp_ieee_inexact 0
		.amdhsa_exception_int_div_zero 0
	.end_amdhsa_kernel
	.section	.text._Z6kernelI6reduceILN6hipcub20BlockReduceAlgorithmE0EEiLj64ELj1ELj100EEvPKT0_PS4_,"axG",@progbits,_Z6kernelI6reduceILN6hipcub20BlockReduceAlgorithmE0EEiLj64ELj1ELj100EEvPKT0_PS4_,comdat
.Lfunc_end0:
	.size	_Z6kernelI6reduceILN6hipcub20BlockReduceAlgorithmE0EEiLj64ELj1ELj100EEvPKT0_PS4_, .Lfunc_end0-_Z6kernelI6reduceILN6hipcub20BlockReduceAlgorithmE0EEiLj64ELj1ELj100EEvPKT0_PS4_
                                        ; -- End function
	.section	.AMDGPU.csdata,"",@progbits
; Kernel info:
; codeLenInByte = 404
; NumSgprs: 18
; NumVgprs: 7
; ScratchSize: 0
; MemoryBound: 0
; FloatMode: 240
; IeeeMode: 1
; LDSByteSize: 8 bytes/workgroup (compile time only)
; SGPRBlocks: 2
; VGPRBlocks: 0
; NumSGPRsForWavesPerEU: 18
; NumVGPRsForWavesPerEU: 7
; Occupancy: 16
; WaveLimiterHint : 0
; COMPUTE_PGM_RSRC2:SCRATCH_EN: 0
; COMPUTE_PGM_RSRC2:USER_SGPR: 15
; COMPUTE_PGM_RSRC2:TRAP_HANDLER: 0
; COMPUTE_PGM_RSRC2:TGID_X_EN: 1
; COMPUTE_PGM_RSRC2:TGID_Y_EN: 0
; COMPUTE_PGM_RSRC2:TGID_Z_EN: 0
; COMPUTE_PGM_RSRC2:TIDIG_COMP_CNT: 0
	.section	.text._Z6kernelI6reduceILN6hipcub20BlockReduceAlgorithmE0EEiLj64ELj2ELj100EEvPKT0_PS4_,"axG",@progbits,_Z6kernelI6reduceILN6hipcub20BlockReduceAlgorithmE0EEiLj64ELj2ELj100EEvPKT0_PS4_,comdat
	.protected	_Z6kernelI6reduceILN6hipcub20BlockReduceAlgorithmE0EEiLj64ELj2ELj100EEvPKT0_PS4_ ; -- Begin function _Z6kernelI6reduceILN6hipcub20BlockReduceAlgorithmE0EEiLj64ELj2ELj100EEvPKT0_PS4_
	.globl	_Z6kernelI6reduceILN6hipcub20BlockReduceAlgorithmE0EEiLj64ELj2ELj100EEvPKT0_PS4_
	.p2align	8
	.type	_Z6kernelI6reduceILN6hipcub20BlockReduceAlgorithmE0EEiLj64ELj2ELj100EEvPKT0_PS4_,@function
_Z6kernelI6reduceILN6hipcub20BlockReduceAlgorithmE0EEiLj64ELj2ELj100EEvPKT0_PS4_: ; @_Z6kernelI6reduceILN6hipcub20BlockReduceAlgorithmE0EEiLj64ELj2ELj100EEvPKT0_PS4_
; %bb.0:
	s_clause 0x1
	s_load_b32 s5, s[0:1], 0x1c
	s_load_b128 s[0:3], s[0:1], 0x0
	v_dual_mov_b32 v2, 0 :: v_dual_mov_b32 v3, 0x7c
	v_mbcnt_lo_u32_b32 v5, -1, 0
	v_lshrrev_b32_e32 v4, 3, v0
	s_mov_b32 s4, s15
	s_delay_alu instid0(VALU_DEP_2) | instskip(NEXT) | instid1(VALU_DEP_2)
	v_and_b32_e32 v6, 1, v5
	v_and_b32_e32 v4, 4, v4
	s_delay_alu instid0(VALU_DEP_2) | instskip(SKIP_2) | instid1(SALU_CYCLE_1)
	v_lshlrev_b32_e32 v6, 2, v6
	s_waitcnt lgkmcnt(0)
	s_and_b32 s5, s5, 0xffff
	s_mul_i32 s5, s15, s5
	s_delay_alu instid0(SALU_CYCLE_1) | instskip(NEXT) | instid1(VALU_DEP_1)
	v_add_lshl_u32 v1, s5, v0, 1
	v_lshlrev_b64 v[1:2], 2, v[1:2]
	s_delay_alu instid0(VALU_DEP_1) | instskip(NEXT) | instid1(VALU_DEP_2)
	v_add_co_u32 v1, vcc_lo, s0, v1
	v_add_co_ci_u32_e32 v2, vcc_lo, s1, v2, vcc_lo
	v_cmp_eq_u32_e32 vcc_lo, 0, v5
	v_cmp_gt_u32_e64 s0, 32, v0
	v_lshl_or_b32 v5, v5, 2, 4
	global_load_b64 v[1:2], v[1:2], off
	s_movk_i32 s1, 0x64
	s_set_inst_prefetch_distance 0x1
	s_branch .LBB1_2
	.p2align	6
.LBB1_1:                                ;   in Loop: Header=BB1_2 Depth=1
	s_or_b32 exec_lo, exec_lo, s5
	s_add_i32 s1, s1, -1
	s_delay_alu instid0(SALU_CYCLE_1)
	s_cmp_eq_u32 s1, 0
	s_cbranch_scc1 .LBB1_6
.LBB1_2:                                ; =>This Inner Loop Header: Depth=1
	s_waitcnt vmcnt(0)
	v_add_nc_u32_e32 v1, v2, v1
	s_delay_alu instid0(VALU_DEP_1) | instskip(NEXT) | instid1(VALU_DEP_1)
	v_mov_b32_dpp v7, v1 quad_perm:[1,0,3,2] row_mask:0xf bank_mask:0xf
	v_add_nc_u32_e32 v1, v1, v7
	s_delay_alu instid0(VALU_DEP_1) | instskip(NEXT) | instid1(VALU_DEP_1)
	v_mov_b32_dpp v7, v1 quad_perm:[2,3,0,1] row_mask:0xf bank_mask:0xf
	v_add_nc_u32_e32 v1, v1, v7
	s_delay_alu instid0(VALU_DEP_1) | instskip(NEXT) | instid1(VALU_DEP_1)
	v_mov_b32_dpp v7, v1 row_ror:4 row_mask:0xf bank_mask:0xf
	v_add_nc_u32_e32 v1, v1, v7
	s_delay_alu instid0(VALU_DEP_1) | instskip(NEXT) | instid1(VALU_DEP_1)
	v_mov_b32_dpp v7, v1 row_ror:8 row_mask:0xf bank_mask:0xf
	v_add_nc_u32_e32 v1, v1, v7
	ds_swizzle_b32 v7, v1 offset:swizzle(BROADCAST,32,15)
	s_waitcnt lgkmcnt(0)
	v_add_nc_u32_e32 v1, v1, v7
	ds_bpermute_b32 v1, v3, v1
	s_and_saveexec_b32 s5, vcc_lo
	s_cbranch_execz .LBB1_4
; %bb.3:                                ;   in Loop: Header=BB1_2 Depth=1
	s_waitcnt lgkmcnt(0)
	ds_store_b32 v4, v1
.LBB1_4:                                ;   in Loop: Header=BB1_2 Depth=1
	s_or_b32 exec_lo, exec_lo, s5
	s_waitcnt lgkmcnt(0)
	s_barrier
	buffer_gl0_inv
	s_and_saveexec_b32 s5, s0
	s_cbranch_execz .LBB1_1
; %bb.5:                                ;   in Loop: Header=BB1_2 Depth=1
	ds_load_b32 v1, v6
	s_waitcnt lgkmcnt(0)
	ds_bpermute_b32 v7, v5, v1
	s_waitcnt lgkmcnt(0)
	v_add_nc_u32_e32 v1, v7, v1
	s_branch .LBB1_1
.LBB1_6:
	s_set_inst_prefetch_distance 0x2
	s_mov_b32 s5, 0
	s_mov_b32 s0, exec_lo
	v_cmpx_eq_u32_e32 0, v0
	s_cbranch_execz .LBB1_8
; %bb.7:
	s_lshl_b64 s[0:1], s[4:5], 2
	v_mov_b32_e32 v0, 0
	s_add_u32 s0, s2, s0
	s_addc_u32 s1, s3, s1
	global_store_b32 v0, v1, s[0:1]
.LBB1_8:
	s_nop 0
	s_sendmsg sendmsg(MSG_DEALLOC_VGPRS)
	s_endpgm
	.section	.rodata,"a",@progbits
	.p2align	6, 0x0
	.amdhsa_kernel _Z6kernelI6reduceILN6hipcub20BlockReduceAlgorithmE0EEiLj64ELj2ELj100EEvPKT0_PS4_
		.amdhsa_group_segment_fixed_size 8
		.amdhsa_private_segment_fixed_size 0
		.amdhsa_kernarg_size 272
		.amdhsa_user_sgpr_count 15
		.amdhsa_user_sgpr_dispatch_ptr 0
		.amdhsa_user_sgpr_queue_ptr 0
		.amdhsa_user_sgpr_kernarg_segment_ptr 1
		.amdhsa_user_sgpr_dispatch_id 0
		.amdhsa_user_sgpr_private_segment_size 0
		.amdhsa_wavefront_size32 1
		.amdhsa_uses_dynamic_stack 0
		.amdhsa_enable_private_segment 0
		.amdhsa_system_sgpr_workgroup_id_x 1
		.amdhsa_system_sgpr_workgroup_id_y 0
		.amdhsa_system_sgpr_workgroup_id_z 0
		.amdhsa_system_sgpr_workgroup_info 0
		.amdhsa_system_vgpr_workitem_id 0
		.amdhsa_next_free_vgpr 8
		.amdhsa_next_free_sgpr 16
		.amdhsa_reserve_vcc 1
		.amdhsa_float_round_mode_32 0
		.amdhsa_float_round_mode_16_64 0
		.amdhsa_float_denorm_mode_32 3
		.amdhsa_float_denorm_mode_16_64 3
		.amdhsa_dx10_clamp 1
		.amdhsa_ieee_mode 1
		.amdhsa_fp16_overflow 0
		.amdhsa_workgroup_processor_mode 1
		.amdhsa_memory_ordered 1
		.amdhsa_forward_progress 0
		.amdhsa_shared_vgpr_count 0
		.amdhsa_exception_fp_ieee_invalid_op 0
		.amdhsa_exception_fp_denorm_src 0
		.amdhsa_exception_fp_ieee_div_zero 0
		.amdhsa_exception_fp_ieee_overflow 0
		.amdhsa_exception_fp_ieee_underflow 0
		.amdhsa_exception_fp_ieee_inexact 0
		.amdhsa_exception_int_div_zero 0
	.end_amdhsa_kernel
	.section	.text._Z6kernelI6reduceILN6hipcub20BlockReduceAlgorithmE0EEiLj64ELj2ELj100EEvPKT0_PS4_,"axG",@progbits,_Z6kernelI6reduceILN6hipcub20BlockReduceAlgorithmE0EEiLj64ELj2ELj100EEvPKT0_PS4_,comdat
.Lfunc_end1:
	.size	_Z6kernelI6reduceILN6hipcub20BlockReduceAlgorithmE0EEiLj64ELj2ELj100EEvPKT0_PS4_, .Lfunc_end1-_Z6kernelI6reduceILN6hipcub20BlockReduceAlgorithmE0EEiLj64ELj2ELj100EEvPKT0_PS4_
                                        ; -- End function
	.section	.AMDGPU.csdata,"",@progbits
; Kernel info:
; codeLenInByte = 412
; NumSgprs: 18
; NumVgprs: 8
; ScratchSize: 0
; MemoryBound: 0
; FloatMode: 240
; IeeeMode: 1
; LDSByteSize: 8 bytes/workgroup (compile time only)
; SGPRBlocks: 2
; VGPRBlocks: 0
; NumSGPRsForWavesPerEU: 18
; NumVGPRsForWavesPerEU: 8
; Occupancy: 16
; WaveLimiterHint : 0
; COMPUTE_PGM_RSRC2:SCRATCH_EN: 0
; COMPUTE_PGM_RSRC2:USER_SGPR: 15
; COMPUTE_PGM_RSRC2:TRAP_HANDLER: 0
; COMPUTE_PGM_RSRC2:TGID_X_EN: 1
; COMPUTE_PGM_RSRC2:TGID_Y_EN: 0
; COMPUTE_PGM_RSRC2:TGID_Z_EN: 0
; COMPUTE_PGM_RSRC2:TIDIG_COMP_CNT: 0
	.section	.text._Z6kernelI6reduceILN6hipcub20BlockReduceAlgorithmE0EEiLj64ELj3ELj100EEvPKT0_PS4_,"axG",@progbits,_Z6kernelI6reduceILN6hipcub20BlockReduceAlgorithmE0EEiLj64ELj3ELj100EEvPKT0_PS4_,comdat
	.protected	_Z6kernelI6reduceILN6hipcub20BlockReduceAlgorithmE0EEiLj64ELj3ELj100EEvPKT0_PS4_ ; -- Begin function _Z6kernelI6reduceILN6hipcub20BlockReduceAlgorithmE0EEiLj64ELj3ELj100EEvPKT0_PS4_
	.globl	_Z6kernelI6reduceILN6hipcub20BlockReduceAlgorithmE0EEiLj64ELj3ELj100EEvPKT0_PS4_
	.p2align	8
	.type	_Z6kernelI6reduceILN6hipcub20BlockReduceAlgorithmE0EEiLj64ELj3ELj100EEvPKT0_PS4_,@function
_Z6kernelI6reduceILN6hipcub20BlockReduceAlgorithmE0EEiLj64ELj3ELj100EEvPKT0_PS4_: ; @_Z6kernelI6reduceILN6hipcub20BlockReduceAlgorithmE0EEiLj64ELj3ELj100EEvPKT0_PS4_
; %bb.0:
	s_load_b32 s2, s[0:1], 0x1c
	s_mov_b32 s4, s15
	s_waitcnt lgkmcnt(0)
	s_and_b32 s2, s2, 0xffff
	s_delay_alu instid0(SALU_CYCLE_1) | instskip(SKIP_1) | instid1(VALU_DEP_1)
	v_mad_u64_u32 v[1:2], null, s4, s2, v[0:1]
	s_load_b128 s[0:3], s[0:1], 0x0
	v_lshl_add_u32 v1, v1, 1, v1
	s_delay_alu instid0(VALU_DEP_1) | instskip(NEXT) | instid1(VALU_DEP_1)
	v_dual_mov_b32 v2, 0 :: v_dual_add_nc_u32 v3, 1, v1
	v_mov_b32_e32 v4, v2
	v_lshlrev_b64 v[5:6], 2, v[1:2]
	v_add_nc_u32_e32 v1, 2, v1
	s_delay_alu instid0(VALU_DEP_3) | instskip(NEXT) | instid1(VALU_DEP_2)
	v_lshlrev_b64 v[3:4], 2, v[3:4]
	v_lshlrev_b64 v[1:2], 2, v[1:2]
	s_waitcnt lgkmcnt(0)
	s_delay_alu instid0(VALU_DEP_4) | instskip(SKIP_1) | instid1(VALU_DEP_4)
	v_add_co_u32 v5, vcc_lo, s0, v5
	v_add_co_ci_u32_e32 v6, vcc_lo, s1, v6, vcc_lo
	v_add_co_u32 v3, vcc_lo, s0, v3
	v_add_co_ci_u32_e32 v4, vcc_lo, s1, v4, vcc_lo
	;; [unrolled: 2-line block ×3, first 2 shown]
	s_clause 0x2
	global_load_b32 v1, v[5:6], off
	global_load_b32 v2, v[3:4], off
	;; [unrolled: 1-line block ×3, first 2 shown]
	v_mbcnt_lo_u32_b32 v6, -1, 0
	v_lshrrev_b32_e32 v5, 3, v0
	v_mov_b32_e32 v4, 0x7c
	v_cmp_gt_u32_e64 s0, 32, v0
	s_movk_i32 s1, 0x64
	v_and_b32_e32 v7, 1, v6
	v_cmp_eq_u32_e32 vcc_lo, 0, v6
	v_and_b32_e32 v5, 4, v5
	v_lshl_or_b32 v6, v6, 2, 4
	s_delay_alu instid0(VALU_DEP_4)
	v_lshlrev_b32_e32 v7, 2, v7
	s_set_inst_prefetch_distance 0x1
	s_branch .LBB2_2
	.p2align	6
.LBB2_1:                                ;   in Loop: Header=BB2_2 Depth=1
	s_or_b32 exec_lo, exec_lo, s5
	s_add_i32 s1, s1, -1
	s_delay_alu instid0(SALU_CYCLE_1)
	s_cmp_eq_u32 s1, 0
	s_cbranch_scc1 .LBB2_6
.LBB2_2:                                ; =>This Inner Loop Header: Depth=1
	s_waitcnt vmcnt(0)
	v_add3_u32 v1, v2, v1, v3
	s_delay_alu instid0(VALU_DEP_1) | instskip(NEXT) | instid1(VALU_DEP_1)
	v_mov_b32_dpp v8, v1 quad_perm:[1,0,3,2] row_mask:0xf bank_mask:0xf
	v_add_nc_u32_e32 v1, v1, v8
	s_delay_alu instid0(VALU_DEP_1) | instskip(NEXT) | instid1(VALU_DEP_1)
	v_mov_b32_dpp v8, v1 quad_perm:[2,3,0,1] row_mask:0xf bank_mask:0xf
	v_add_nc_u32_e32 v1, v1, v8
	s_delay_alu instid0(VALU_DEP_1) | instskip(NEXT) | instid1(VALU_DEP_1)
	v_mov_b32_dpp v8, v1 row_ror:4 row_mask:0xf bank_mask:0xf
	v_add_nc_u32_e32 v1, v1, v8
	s_delay_alu instid0(VALU_DEP_1) | instskip(NEXT) | instid1(VALU_DEP_1)
	v_mov_b32_dpp v8, v1 row_ror:8 row_mask:0xf bank_mask:0xf
	v_add_nc_u32_e32 v1, v1, v8
	ds_swizzle_b32 v8, v1 offset:swizzle(BROADCAST,32,15)
	s_waitcnt lgkmcnt(0)
	v_add_nc_u32_e32 v1, v1, v8
	ds_bpermute_b32 v1, v4, v1
	s_and_saveexec_b32 s5, vcc_lo
	s_cbranch_execz .LBB2_4
; %bb.3:                                ;   in Loop: Header=BB2_2 Depth=1
	s_waitcnt lgkmcnt(0)
	ds_store_b32 v5, v1
.LBB2_4:                                ;   in Loop: Header=BB2_2 Depth=1
	s_or_b32 exec_lo, exec_lo, s5
	s_waitcnt lgkmcnt(0)
	s_barrier
	buffer_gl0_inv
	s_and_saveexec_b32 s5, s0
	s_cbranch_execz .LBB2_1
; %bb.5:                                ;   in Loop: Header=BB2_2 Depth=1
	ds_load_b32 v1, v7
	s_waitcnt lgkmcnt(0)
	ds_bpermute_b32 v8, v6, v1
	s_waitcnt lgkmcnt(0)
	v_add_nc_u32_e32 v1, v8, v1
	s_branch .LBB2_1
.LBB2_6:
	s_set_inst_prefetch_distance 0x2
	s_mov_b32 s5, 0
	s_mov_b32 s0, exec_lo
	v_cmpx_eq_u32_e32 0, v0
	s_cbranch_execz .LBB2_8
; %bb.7:
	s_lshl_b64 s[0:1], s[4:5], 2
	v_mov_b32_e32 v0, 0
	s_add_u32 s0, s2, s0
	s_addc_u32 s1, s3, s1
	global_store_b32 v0, v1, s[0:1]
.LBB2_8:
	s_nop 0
	s_sendmsg sendmsg(MSG_DEALLOC_VGPRS)
	s_endpgm
	.section	.rodata,"a",@progbits
	.p2align	6, 0x0
	.amdhsa_kernel _Z6kernelI6reduceILN6hipcub20BlockReduceAlgorithmE0EEiLj64ELj3ELj100EEvPKT0_PS4_
		.amdhsa_group_segment_fixed_size 8
		.amdhsa_private_segment_fixed_size 0
		.amdhsa_kernarg_size 272
		.amdhsa_user_sgpr_count 15
		.amdhsa_user_sgpr_dispatch_ptr 0
		.amdhsa_user_sgpr_queue_ptr 0
		.amdhsa_user_sgpr_kernarg_segment_ptr 1
		.amdhsa_user_sgpr_dispatch_id 0
		.amdhsa_user_sgpr_private_segment_size 0
		.amdhsa_wavefront_size32 1
		.amdhsa_uses_dynamic_stack 0
		.amdhsa_enable_private_segment 0
		.amdhsa_system_sgpr_workgroup_id_x 1
		.amdhsa_system_sgpr_workgroup_id_y 0
		.amdhsa_system_sgpr_workgroup_id_z 0
		.amdhsa_system_sgpr_workgroup_info 0
		.amdhsa_system_vgpr_workitem_id 0
		.amdhsa_next_free_vgpr 9
		.amdhsa_next_free_sgpr 16
		.amdhsa_reserve_vcc 1
		.amdhsa_float_round_mode_32 0
		.amdhsa_float_round_mode_16_64 0
		.amdhsa_float_denorm_mode_32 3
		.amdhsa_float_denorm_mode_16_64 3
		.amdhsa_dx10_clamp 1
		.amdhsa_ieee_mode 1
		.amdhsa_fp16_overflow 0
		.amdhsa_workgroup_processor_mode 1
		.amdhsa_memory_ordered 1
		.amdhsa_forward_progress 0
		.amdhsa_shared_vgpr_count 0
		.amdhsa_exception_fp_ieee_invalid_op 0
		.amdhsa_exception_fp_denorm_src 0
		.amdhsa_exception_fp_ieee_div_zero 0
		.amdhsa_exception_fp_ieee_overflow 0
		.amdhsa_exception_fp_ieee_underflow 0
		.amdhsa_exception_fp_ieee_inexact 0
		.amdhsa_exception_int_div_zero 0
	.end_amdhsa_kernel
	.section	.text._Z6kernelI6reduceILN6hipcub20BlockReduceAlgorithmE0EEiLj64ELj3ELj100EEvPKT0_PS4_,"axG",@progbits,_Z6kernelI6reduceILN6hipcub20BlockReduceAlgorithmE0EEiLj64ELj3ELj100EEvPKT0_PS4_,comdat
.Lfunc_end2:
	.size	_Z6kernelI6reduceILN6hipcub20BlockReduceAlgorithmE0EEiLj64ELj3ELj100EEvPKT0_PS4_, .Lfunc_end2-_Z6kernelI6reduceILN6hipcub20BlockReduceAlgorithmE0EEiLj64ELj3ELj100EEvPKT0_PS4_
                                        ; -- End function
	.section	.AMDGPU.csdata,"",@progbits
; Kernel info:
; codeLenInByte = 496
; NumSgprs: 18
; NumVgprs: 9
; ScratchSize: 0
; MemoryBound: 0
; FloatMode: 240
; IeeeMode: 1
; LDSByteSize: 8 bytes/workgroup (compile time only)
; SGPRBlocks: 2
; VGPRBlocks: 1
; NumSGPRsForWavesPerEU: 18
; NumVGPRsForWavesPerEU: 9
; Occupancy: 16
; WaveLimiterHint : 0
; COMPUTE_PGM_RSRC2:SCRATCH_EN: 0
; COMPUTE_PGM_RSRC2:USER_SGPR: 15
; COMPUTE_PGM_RSRC2:TRAP_HANDLER: 0
; COMPUTE_PGM_RSRC2:TGID_X_EN: 1
; COMPUTE_PGM_RSRC2:TGID_Y_EN: 0
; COMPUTE_PGM_RSRC2:TGID_Z_EN: 0
; COMPUTE_PGM_RSRC2:TIDIG_COMP_CNT: 0
	.section	.text._Z6kernelI6reduceILN6hipcub20BlockReduceAlgorithmE0EEiLj64ELj4ELj100EEvPKT0_PS4_,"axG",@progbits,_Z6kernelI6reduceILN6hipcub20BlockReduceAlgorithmE0EEiLj64ELj4ELj100EEvPKT0_PS4_,comdat
	.protected	_Z6kernelI6reduceILN6hipcub20BlockReduceAlgorithmE0EEiLj64ELj4ELj100EEvPKT0_PS4_ ; -- Begin function _Z6kernelI6reduceILN6hipcub20BlockReduceAlgorithmE0EEiLj64ELj4ELj100EEvPKT0_PS4_
	.globl	_Z6kernelI6reduceILN6hipcub20BlockReduceAlgorithmE0EEiLj64ELj4ELj100EEvPKT0_PS4_
	.p2align	8
	.type	_Z6kernelI6reduceILN6hipcub20BlockReduceAlgorithmE0EEiLj64ELj4ELj100EEvPKT0_PS4_,@function
_Z6kernelI6reduceILN6hipcub20BlockReduceAlgorithmE0EEiLj64ELj4ELj100EEvPKT0_PS4_: ; @_Z6kernelI6reduceILN6hipcub20BlockReduceAlgorithmE0EEiLj64ELj4ELj100EEvPKT0_PS4_
; %bb.0:
	s_clause 0x1
	s_load_b32 s5, s[0:1], 0x1c
	s_load_b128 s[0:3], s[0:1], 0x0
	v_dual_mov_b32 v2, 0 :: v_dual_mov_b32 v5, 0x7c
	v_mbcnt_lo_u32_b32 v7, -1, 0
	v_lshrrev_b32_e32 v6, 3, v0
	s_mov_b32 s4, s15
	s_delay_alu instid0(VALU_DEP_2) | instskip(NEXT) | instid1(VALU_DEP_2)
	v_and_b32_e32 v8, 1, v7
	v_and_b32_e32 v6, 4, v6
	s_delay_alu instid0(VALU_DEP_2) | instskip(SKIP_2) | instid1(SALU_CYCLE_1)
	v_lshlrev_b32_e32 v8, 2, v8
	s_waitcnt lgkmcnt(0)
	s_and_b32 s5, s5, 0xffff
	s_mul_i32 s5, s15, s5
	s_delay_alu instid0(SALU_CYCLE_1) | instskip(NEXT) | instid1(VALU_DEP_1)
	v_add_lshl_u32 v1, s5, v0, 2
	v_lshlrev_b64 v[1:2], 2, v[1:2]
	s_delay_alu instid0(VALU_DEP_1) | instskip(NEXT) | instid1(VALU_DEP_2)
	v_add_co_u32 v1, vcc_lo, s0, v1
	v_add_co_ci_u32_e32 v2, vcc_lo, s1, v2, vcc_lo
	v_cmp_eq_u32_e32 vcc_lo, 0, v7
	v_cmp_gt_u32_e64 s0, 32, v0
	v_lshl_or_b32 v7, v7, 2, 4
	global_load_b128 v[1:4], v[1:2], off
	s_movk_i32 s1, 0x64
	s_set_inst_prefetch_distance 0x1
	s_branch .LBB3_2
	.p2align	6
.LBB3_1:                                ;   in Loop: Header=BB3_2 Depth=1
	s_or_b32 exec_lo, exec_lo, s5
	s_add_i32 s1, s1, -1
	s_delay_alu instid0(SALU_CYCLE_1)
	s_cmp_eq_u32 s1, 0
	s_cbranch_scc1 .LBB3_6
.LBB3_2:                                ; =>This Inner Loop Header: Depth=1
	s_waitcnt vmcnt(0)
	v_add_nc_u32_e32 v1, v2, v1
	s_delay_alu instid0(VALU_DEP_1) | instskip(NEXT) | instid1(VALU_DEP_1)
	v_add3_u32 v1, v1, v3, v4
	v_mov_b32_dpp v9, v1 quad_perm:[1,0,3,2] row_mask:0xf bank_mask:0xf
	s_delay_alu instid0(VALU_DEP_1) | instskip(NEXT) | instid1(VALU_DEP_1)
	v_add_nc_u32_e32 v1, v1, v9
	v_mov_b32_dpp v9, v1 quad_perm:[2,3,0,1] row_mask:0xf bank_mask:0xf
	s_delay_alu instid0(VALU_DEP_1) | instskip(NEXT) | instid1(VALU_DEP_1)
	v_add_nc_u32_e32 v1, v1, v9
	v_mov_b32_dpp v9, v1 row_ror:4 row_mask:0xf bank_mask:0xf
	s_delay_alu instid0(VALU_DEP_1) | instskip(NEXT) | instid1(VALU_DEP_1)
	v_add_nc_u32_e32 v1, v1, v9
	v_mov_b32_dpp v9, v1 row_ror:8 row_mask:0xf bank_mask:0xf
	s_delay_alu instid0(VALU_DEP_1)
	v_add_nc_u32_e32 v1, v1, v9
	ds_swizzle_b32 v9, v1 offset:swizzle(BROADCAST,32,15)
	s_waitcnt lgkmcnt(0)
	v_add_nc_u32_e32 v1, v1, v9
	ds_bpermute_b32 v1, v5, v1
	s_and_saveexec_b32 s5, vcc_lo
	s_cbranch_execz .LBB3_4
; %bb.3:                                ;   in Loop: Header=BB3_2 Depth=1
	s_waitcnt lgkmcnt(0)
	ds_store_b32 v6, v1
.LBB3_4:                                ;   in Loop: Header=BB3_2 Depth=1
	s_or_b32 exec_lo, exec_lo, s5
	s_waitcnt lgkmcnt(0)
	s_barrier
	buffer_gl0_inv
	s_and_saveexec_b32 s5, s0
	s_cbranch_execz .LBB3_1
; %bb.5:                                ;   in Loop: Header=BB3_2 Depth=1
	ds_load_b32 v1, v8
	s_waitcnt lgkmcnt(0)
	ds_bpermute_b32 v9, v7, v1
	s_waitcnt lgkmcnt(0)
	v_add_nc_u32_e32 v1, v9, v1
	s_branch .LBB3_1
.LBB3_6:
	s_set_inst_prefetch_distance 0x2
	s_mov_b32 s5, 0
	s_mov_b32 s0, exec_lo
	v_cmpx_eq_u32_e32 0, v0
	s_cbranch_execz .LBB3_8
; %bb.7:
	s_lshl_b64 s[0:1], s[4:5], 2
	v_mov_b32_e32 v0, 0
	s_add_u32 s0, s2, s0
	s_addc_u32 s1, s3, s1
	global_store_b32 v0, v1, s[0:1]
.LBB3_8:
	s_nop 0
	s_sendmsg sendmsg(MSG_DEALLOC_VGPRS)
	s_endpgm
	.section	.rodata,"a",@progbits
	.p2align	6, 0x0
	.amdhsa_kernel _Z6kernelI6reduceILN6hipcub20BlockReduceAlgorithmE0EEiLj64ELj4ELj100EEvPKT0_PS4_
		.amdhsa_group_segment_fixed_size 8
		.amdhsa_private_segment_fixed_size 0
		.amdhsa_kernarg_size 272
		.amdhsa_user_sgpr_count 15
		.amdhsa_user_sgpr_dispatch_ptr 0
		.amdhsa_user_sgpr_queue_ptr 0
		.amdhsa_user_sgpr_kernarg_segment_ptr 1
		.amdhsa_user_sgpr_dispatch_id 0
		.amdhsa_user_sgpr_private_segment_size 0
		.amdhsa_wavefront_size32 1
		.amdhsa_uses_dynamic_stack 0
		.amdhsa_enable_private_segment 0
		.amdhsa_system_sgpr_workgroup_id_x 1
		.amdhsa_system_sgpr_workgroup_id_y 0
		.amdhsa_system_sgpr_workgroup_id_z 0
		.amdhsa_system_sgpr_workgroup_info 0
		.amdhsa_system_vgpr_workitem_id 0
		.amdhsa_next_free_vgpr 10
		.amdhsa_next_free_sgpr 16
		.amdhsa_reserve_vcc 1
		.amdhsa_float_round_mode_32 0
		.amdhsa_float_round_mode_16_64 0
		.amdhsa_float_denorm_mode_32 3
		.amdhsa_float_denorm_mode_16_64 3
		.amdhsa_dx10_clamp 1
		.amdhsa_ieee_mode 1
		.amdhsa_fp16_overflow 0
		.amdhsa_workgroup_processor_mode 1
		.amdhsa_memory_ordered 1
		.amdhsa_forward_progress 0
		.amdhsa_shared_vgpr_count 0
		.amdhsa_exception_fp_ieee_invalid_op 0
		.amdhsa_exception_fp_denorm_src 0
		.amdhsa_exception_fp_ieee_div_zero 0
		.amdhsa_exception_fp_ieee_overflow 0
		.amdhsa_exception_fp_ieee_underflow 0
		.amdhsa_exception_fp_ieee_inexact 0
		.amdhsa_exception_int_div_zero 0
	.end_amdhsa_kernel
	.section	.text._Z6kernelI6reduceILN6hipcub20BlockReduceAlgorithmE0EEiLj64ELj4ELj100EEvPKT0_PS4_,"axG",@progbits,_Z6kernelI6reduceILN6hipcub20BlockReduceAlgorithmE0EEiLj64ELj4ELj100EEvPKT0_PS4_,comdat
.Lfunc_end3:
	.size	_Z6kernelI6reduceILN6hipcub20BlockReduceAlgorithmE0EEiLj64ELj4ELj100EEvPKT0_PS4_, .Lfunc_end3-_Z6kernelI6reduceILN6hipcub20BlockReduceAlgorithmE0EEiLj64ELj4ELj100EEvPKT0_PS4_
                                        ; -- End function
	.section	.AMDGPU.csdata,"",@progbits
; Kernel info:
; codeLenInByte = 424
; NumSgprs: 18
; NumVgprs: 10
; ScratchSize: 0
; MemoryBound: 0
; FloatMode: 240
; IeeeMode: 1
; LDSByteSize: 8 bytes/workgroup (compile time only)
; SGPRBlocks: 2
; VGPRBlocks: 1
; NumSGPRsForWavesPerEU: 18
; NumVGPRsForWavesPerEU: 10
; Occupancy: 16
; WaveLimiterHint : 0
; COMPUTE_PGM_RSRC2:SCRATCH_EN: 0
; COMPUTE_PGM_RSRC2:USER_SGPR: 15
; COMPUTE_PGM_RSRC2:TRAP_HANDLER: 0
; COMPUTE_PGM_RSRC2:TGID_X_EN: 1
; COMPUTE_PGM_RSRC2:TGID_Y_EN: 0
; COMPUTE_PGM_RSRC2:TGID_Z_EN: 0
; COMPUTE_PGM_RSRC2:TIDIG_COMP_CNT: 0
	.section	.text._Z6kernelI6reduceILN6hipcub20BlockReduceAlgorithmE0EEiLj64ELj8ELj100EEvPKT0_PS4_,"axG",@progbits,_Z6kernelI6reduceILN6hipcub20BlockReduceAlgorithmE0EEiLj64ELj8ELj100EEvPKT0_PS4_,comdat
	.protected	_Z6kernelI6reduceILN6hipcub20BlockReduceAlgorithmE0EEiLj64ELj8ELj100EEvPKT0_PS4_ ; -- Begin function _Z6kernelI6reduceILN6hipcub20BlockReduceAlgorithmE0EEiLj64ELj8ELj100EEvPKT0_PS4_
	.globl	_Z6kernelI6reduceILN6hipcub20BlockReduceAlgorithmE0EEiLj64ELj8ELj100EEvPKT0_PS4_
	.p2align	8
	.type	_Z6kernelI6reduceILN6hipcub20BlockReduceAlgorithmE0EEiLj64ELj8ELj100EEvPKT0_PS4_,@function
_Z6kernelI6reduceILN6hipcub20BlockReduceAlgorithmE0EEiLj64ELj8ELj100EEvPKT0_PS4_: ; @_Z6kernelI6reduceILN6hipcub20BlockReduceAlgorithmE0EEiLj64ELj8ELj100EEvPKT0_PS4_
; %bb.0:
	s_clause 0x1
	s_load_b32 s5, s[0:1], 0x1c
	s_load_b128 s[0:3], s[0:1], 0x0
	v_dual_mov_b32 v2, 0 :: v_dual_mov_b32 v9, 0x7c
	v_mbcnt_lo_u32_b32 v11, -1, 0
	v_lshrrev_b32_e32 v10, 3, v0
	s_mov_b32 s4, s15
	s_delay_alu instid0(VALU_DEP_2) | instskip(NEXT) | instid1(VALU_DEP_2)
	v_and_b32_e32 v12, 1, v11
	v_and_b32_e32 v10, 4, v10
	s_delay_alu instid0(VALU_DEP_2) | instskip(SKIP_2) | instid1(SALU_CYCLE_1)
	v_lshlrev_b32_e32 v12, 2, v12
	s_waitcnt lgkmcnt(0)
	s_and_b32 s5, s5, 0xffff
	s_mul_i32 s5, s15, s5
	s_delay_alu instid0(SALU_CYCLE_1) | instskip(NEXT) | instid1(VALU_DEP_1)
	v_add_lshl_u32 v1, s5, v0, 3
	v_lshlrev_b64 v[1:2], 2, v[1:2]
	s_delay_alu instid0(VALU_DEP_1) | instskip(NEXT) | instid1(VALU_DEP_2)
	v_add_co_u32 v5, vcc_lo, s0, v1
	v_add_co_ci_u32_e32 v6, vcc_lo, s1, v2, vcc_lo
	v_cmp_eq_u32_e32 vcc_lo, 0, v11
	v_cmp_gt_u32_e64 s0, 32, v0
	v_lshl_or_b32 v11, v11, 2, 4
	s_clause 0x1
	global_load_b128 v[1:4], v[5:6], off
	global_load_b128 v[5:8], v[5:6], off offset:16
	s_movk_i32 s1, 0x64
	s_set_inst_prefetch_distance 0x1
	s_branch .LBB4_2
	.p2align	6
.LBB4_1:                                ;   in Loop: Header=BB4_2 Depth=1
	s_or_b32 exec_lo, exec_lo, s5
	s_add_i32 s1, s1, -1
	s_delay_alu instid0(SALU_CYCLE_1)
	s_cmp_eq_u32 s1, 0
	s_cbranch_scc1 .LBB4_6
.LBB4_2:                                ; =>This Inner Loop Header: Depth=1
	s_waitcnt vmcnt(1)
	v_add_nc_u32_e32 v1, v2, v1
	s_delay_alu instid0(VALU_DEP_1) | instskip(SKIP_1) | instid1(VALU_DEP_1)
	v_add3_u32 v1, v1, v3, v4
	s_waitcnt vmcnt(0)
	v_add3_u32 v1, v1, v5, v6
	s_delay_alu instid0(VALU_DEP_1) | instskip(NEXT) | instid1(VALU_DEP_1)
	v_add3_u32 v1, v1, v7, v8
	v_mov_b32_dpp v13, v1 quad_perm:[1,0,3,2] row_mask:0xf bank_mask:0xf
	s_delay_alu instid0(VALU_DEP_1) | instskip(NEXT) | instid1(VALU_DEP_1)
	v_add_nc_u32_e32 v1, v1, v13
	v_mov_b32_dpp v13, v1 quad_perm:[2,3,0,1] row_mask:0xf bank_mask:0xf
	s_delay_alu instid0(VALU_DEP_1) | instskip(NEXT) | instid1(VALU_DEP_1)
	v_add_nc_u32_e32 v1, v1, v13
	v_mov_b32_dpp v13, v1 row_ror:4 row_mask:0xf bank_mask:0xf
	s_delay_alu instid0(VALU_DEP_1) | instskip(NEXT) | instid1(VALU_DEP_1)
	v_add_nc_u32_e32 v1, v1, v13
	v_mov_b32_dpp v13, v1 row_ror:8 row_mask:0xf bank_mask:0xf
	s_delay_alu instid0(VALU_DEP_1)
	v_add_nc_u32_e32 v1, v1, v13
	ds_swizzle_b32 v13, v1 offset:swizzle(BROADCAST,32,15)
	s_waitcnt lgkmcnt(0)
	v_add_nc_u32_e32 v1, v1, v13
	ds_bpermute_b32 v1, v9, v1
	s_and_saveexec_b32 s5, vcc_lo
	s_cbranch_execz .LBB4_4
; %bb.3:                                ;   in Loop: Header=BB4_2 Depth=1
	s_waitcnt lgkmcnt(0)
	ds_store_b32 v10, v1
.LBB4_4:                                ;   in Loop: Header=BB4_2 Depth=1
	s_or_b32 exec_lo, exec_lo, s5
	s_waitcnt lgkmcnt(0)
	s_barrier
	buffer_gl0_inv
	s_and_saveexec_b32 s5, s0
	s_cbranch_execz .LBB4_1
; %bb.5:                                ;   in Loop: Header=BB4_2 Depth=1
	ds_load_b32 v1, v12
	s_waitcnt lgkmcnt(0)
	ds_bpermute_b32 v13, v11, v1
	s_waitcnt lgkmcnt(0)
	v_add_nc_u32_e32 v1, v13, v1
	s_branch .LBB4_1
.LBB4_6:
	s_set_inst_prefetch_distance 0x2
	s_mov_b32 s5, 0
	s_mov_b32 s0, exec_lo
	v_cmpx_eq_u32_e32 0, v0
	s_cbranch_execz .LBB4_8
; %bb.7:
	s_lshl_b64 s[0:1], s[4:5], 2
	v_mov_b32_e32 v0, 0
	s_add_u32 s0, s2, s0
	s_addc_u32 s1, s3, s1
	global_store_b32 v0, v1, s[0:1]
.LBB4_8:
	s_nop 0
	s_sendmsg sendmsg(MSG_DEALLOC_VGPRS)
	s_endpgm
	.section	.rodata,"a",@progbits
	.p2align	6, 0x0
	.amdhsa_kernel _Z6kernelI6reduceILN6hipcub20BlockReduceAlgorithmE0EEiLj64ELj8ELj100EEvPKT0_PS4_
		.amdhsa_group_segment_fixed_size 8
		.amdhsa_private_segment_fixed_size 0
		.amdhsa_kernarg_size 272
		.amdhsa_user_sgpr_count 15
		.amdhsa_user_sgpr_dispatch_ptr 0
		.amdhsa_user_sgpr_queue_ptr 0
		.amdhsa_user_sgpr_kernarg_segment_ptr 1
		.amdhsa_user_sgpr_dispatch_id 0
		.amdhsa_user_sgpr_private_segment_size 0
		.amdhsa_wavefront_size32 1
		.amdhsa_uses_dynamic_stack 0
		.amdhsa_enable_private_segment 0
		.amdhsa_system_sgpr_workgroup_id_x 1
		.amdhsa_system_sgpr_workgroup_id_y 0
		.amdhsa_system_sgpr_workgroup_id_z 0
		.amdhsa_system_sgpr_workgroup_info 0
		.amdhsa_system_vgpr_workitem_id 0
		.amdhsa_next_free_vgpr 14
		.amdhsa_next_free_sgpr 16
		.amdhsa_reserve_vcc 1
		.amdhsa_float_round_mode_32 0
		.amdhsa_float_round_mode_16_64 0
		.amdhsa_float_denorm_mode_32 3
		.amdhsa_float_denorm_mode_16_64 3
		.amdhsa_dx10_clamp 1
		.amdhsa_ieee_mode 1
		.amdhsa_fp16_overflow 0
		.amdhsa_workgroup_processor_mode 1
		.amdhsa_memory_ordered 1
		.amdhsa_forward_progress 0
		.amdhsa_shared_vgpr_count 0
		.amdhsa_exception_fp_ieee_invalid_op 0
		.amdhsa_exception_fp_denorm_src 0
		.amdhsa_exception_fp_ieee_div_zero 0
		.amdhsa_exception_fp_ieee_overflow 0
		.amdhsa_exception_fp_ieee_underflow 0
		.amdhsa_exception_fp_ieee_inexact 0
		.amdhsa_exception_int_div_zero 0
	.end_amdhsa_kernel
	.section	.text._Z6kernelI6reduceILN6hipcub20BlockReduceAlgorithmE0EEiLj64ELj8ELj100EEvPKT0_PS4_,"axG",@progbits,_Z6kernelI6reduceILN6hipcub20BlockReduceAlgorithmE0EEiLj64ELj8ELj100EEvPKT0_PS4_,comdat
.Lfunc_end4:
	.size	_Z6kernelI6reduceILN6hipcub20BlockReduceAlgorithmE0EEiLj64ELj8ELj100EEvPKT0_PS4_, .Lfunc_end4-_Z6kernelI6reduceILN6hipcub20BlockReduceAlgorithmE0EEiLj64ELj8ELj100EEvPKT0_PS4_
                                        ; -- End function
	.section	.AMDGPU.csdata,"",@progbits
; Kernel info:
; codeLenInByte = 460
; NumSgprs: 18
; NumVgprs: 14
; ScratchSize: 0
; MemoryBound: 0
; FloatMode: 240
; IeeeMode: 1
; LDSByteSize: 8 bytes/workgroup (compile time only)
; SGPRBlocks: 2
; VGPRBlocks: 1
; NumSGPRsForWavesPerEU: 18
; NumVGPRsForWavesPerEU: 14
; Occupancy: 16
; WaveLimiterHint : 0
; COMPUTE_PGM_RSRC2:SCRATCH_EN: 0
; COMPUTE_PGM_RSRC2:USER_SGPR: 15
; COMPUTE_PGM_RSRC2:TRAP_HANDLER: 0
; COMPUTE_PGM_RSRC2:TGID_X_EN: 1
; COMPUTE_PGM_RSRC2:TGID_Y_EN: 0
; COMPUTE_PGM_RSRC2:TGID_Z_EN: 0
; COMPUTE_PGM_RSRC2:TIDIG_COMP_CNT: 0
	.section	.text._Z6kernelI6reduceILN6hipcub20BlockReduceAlgorithmE0EEiLj64ELj11ELj100EEvPKT0_PS4_,"axG",@progbits,_Z6kernelI6reduceILN6hipcub20BlockReduceAlgorithmE0EEiLj64ELj11ELj100EEvPKT0_PS4_,comdat
	.protected	_Z6kernelI6reduceILN6hipcub20BlockReduceAlgorithmE0EEiLj64ELj11ELj100EEvPKT0_PS4_ ; -- Begin function _Z6kernelI6reduceILN6hipcub20BlockReduceAlgorithmE0EEiLj64ELj11ELj100EEvPKT0_PS4_
	.globl	_Z6kernelI6reduceILN6hipcub20BlockReduceAlgorithmE0EEiLj64ELj11ELj100EEvPKT0_PS4_
	.p2align	8
	.type	_Z6kernelI6reduceILN6hipcub20BlockReduceAlgorithmE0EEiLj64ELj11ELj100EEvPKT0_PS4_,@function
_Z6kernelI6reduceILN6hipcub20BlockReduceAlgorithmE0EEiLj64ELj11ELj100EEvPKT0_PS4_: ; @_Z6kernelI6reduceILN6hipcub20BlockReduceAlgorithmE0EEiLj64ELj11ELj100EEvPKT0_PS4_
; %bb.0:
	s_load_b32 s2, s[0:1], 0x1c
	s_mov_b32 s4, s15
	s_waitcnt lgkmcnt(0)
	s_and_b32 s2, s2, 0xffff
	s_delay_alu instid0(SALU_CYCLE_1) | instskip(SKIP_1) | instid1(VALU_DEP_1)
	v_mad_u64_u32 v[1:2], null, s4, s2, v[0:1]
	s_load_b128 s[0:3], s[0:1], 0x0
	v_mul_lo_u32 v1, v1, 11
	s_delay_alu instid0(VALU_DEP_1) | instskip(NEXT) | instid1(VALU_DEP_1)
	v_dual_mov_b32 v2, 0 :: v_dual_add_nc_u32 v3, 1, v1
	v_dual_mov_b32 v4, v2 :: v_dual_add_nc_u32 v5, 2, v1
	;; [unrolled: 1-line block ×4, first 2 shown]
	s_delay_alu instid0(VALU_DEP_3) | instskip(NEXT) | instid1(VALU_DEP_3)
	v_lshlrev_b64 v[3:4], 2, v[3:4]
	v_lshlrev_b64 v[5:6], 2, v[5:6]
	v_dual_mov_b32 v10, v2 :: v_dual_add_nc_u32 v11, 5, v1
	s_delay_alu instid0(VALU_DEP_4)
	v_lshlrev_b64 v[7:8], 2, v[7:8]
	v_dual_mov_b32 v12, v2 :: v_dual_add_nc_u32 v13, 6, v1
	s_waitcnt lgkmcnt(0)
	v_add_co_u32 v3, vcc_lo, s0, v3
	v_add_co_ci_u32_e32 v4, vcc_lo, s1, v4, vcc_lo
	v_lshlrev_b64 v[9:10], 2, v[9:10]
	v_add_co_u32 v5, vcc_lo, s0, v5
	v_dual_mov_b32 v14, v2 :: v_dual_add_nc_u32 v15, 7, v1
	v_add_co_ci_u32_e32 v6, vcc_lo, s1, v6, vcc_lo
	v_lshlrev_b64 v[11:12], 2, v[11:12]
	v_add_co_u32 v7, vcc_lo, s0, v7
	v_dual_mov_b32 v16, v2 :: v_dual_add_nc_u32 v19, 8, v1
	;; [unrolled: 4-line block ×3, first 2 shown]
	v_add_co_ci_u32_e32 v10, vcc_lo, s1, v10, vcc_lo
	v_lshlrev_b64 v[15:16], 2, v[15:16]
	v_add_co_u32 v11, vcc_lo, s0, v11
	v_add_co_ci_u32_e32 v12, vcc_lo, s1, v12, vcc_lo
	v_add_co_u32 v13, vcc_lo, s0, v13
	v_lshlrev_b64 v[19:20], 2, v[19:20]
	v_mov_b32_e32 v22, v2
	v_add_co_ci_u32_e32 v14, vcc_lo, s1, v14, vcc_lo
	v_add_co_u32 v15, vcc_lo, s0, v15
	v_lshlrev_b64 v[17:18], 2, v[1:2]
	v_add_nc_u32_e32 v1, 10, v1
	v_add_co_ci_u32_e32 v16, vcc_lo, s1, v16, vcc_lo
	v_add_co_u32 v19, vcc_lo, s0, v19
	v_lshlrev_b64 v[21:22], 2, v[21:22]
	v_add_co_ci_u32_e32 v20, vcc_lo, s1, v20, vcc_lo
	s_clause 0x7
	global_load_b32 v23, v[3:4], off
	global_load_b32 v24, v[5:6], off
	;; [unrolled: 1-line block ×8, first 2 shown]
	v_lshlrev_b64 v[1:2], 2, v[1:2]
	v_add_co_u32 v3, vcc_lo, s0, v21
	v_add_co_ci_u32_e32 v4, vcc_lo, s1, v22, vcc_lo
	s_delay_alu instid0(VALU_DEP_3) | instskip(NEXT) | instid1(VALU_DEP_4)
	v_add_co_u32 v1, vcc_lo, s0, v1
	v_add_co_ci_u32_e32 v2, vcc_lo, s1, v2, vcc_lo
	v_add_co_u32 v5, vcc_lo, s0, v17
	v_add_co_ci_u32_e32 v6, vcc_lo, s1, v18, vcc_lo
	s_clause 0x2
	global_load_b32 v13, v[3:4], off
	global_load_b32 v14, v[1:2], off
	global_load_b32 v1, v[5:6], off
	v_mbcnt_lo_u32_b32 v4, -1, 0
	v_lshrrev_b32_e32 v5, 3, v0
	v_cmp_gt_u32_e64 s0, 32, v0
	s_movk_i32 s1, 0x64
	s_delay_alu instid0(VALU_DEP_3)
	v_and_b32_e32 v6, 1, v4
	v_cmp_eq_u32_e32 vcc_lo, 0, v4
	v_lshl_or_b32 v4, v4, 2, 4
	s_waitcnt vmcnt(9)
	v_add_nc_u32_e32 v2, v24, v23
	s_waitcnt vmcnt(7)
	s_delay_alu instid0(VALU_DEP_1) | instskip(SKIP_1) | instid1(VALU_DEP_1)
	v_add3_u32 v2, v2, v7, v8
	s_waitcnt vmcnt(5)
	v_add3_u32 v3, v2, v9, v10
	v_mov_b32_e32 v2, 0x7c
	s_waitcnt vmcnt(3)
	s_delay_alu instid0(VALU_DEP_2) | instskip(SKIP_3) | instid1(VALU_DEP_3)
	v_add3_u32 v7, v3, v11, v12
	v_and_b32_e32 v3, 4, v5
	v_lshlrev_b32_e32 v5, 2, v6
	s_waitcnt vmcnt(1)
	v_add3_u32 v6, v7, v13, v14
	s_set_inst_prefetch_distance 0x1
	s_branch .LBB5_2
	.p2align	6
.LBB5_1:                                ;   in Loop: Header=BB5_2 Depth=1
	s_or_b32 exec_lo, exec_lo, s5
	s_add_i32 s1, s1, -1
	s_delay_alu instid0(SALU_CYCLE_1)
	s_cmp_eq_u32 s1, 0
	s_cbranch_scc1 .LBB5_6
.LBB5_2:                                ; =>This Inner Loop Header: Depth=1
	s_waitcnt vmcnt(0)
	s_delay_alu instid0(VALU_DEP_1) | instskip(NEXT) | instid1(VALU_DEP_1)
	v_add_nc_u32_e32 v1, v6, v1
	v_mov_b32_dpp v7, v1 quad_perm:[1,0,3,2] row_mask:0xf bank_mask:0xf
	s_delay_alu instid0(VALU_DEP_1) | instskip(NEXT) | instid1(VALU_DEP_1)
	v_add_nc_u32_e32 v1, v1, v7
	v_mov_b32_dpp v7, v1 quad_perm:[2,3,0,1] row_mask:0xf bank_mask:0xf
	s_delay_alu instid0(VALU_DEP_1) | instskip(NEXT) | instid1(VALU_DEP_1)
	v_add_nc_u32_e32 v1, v1, v7
	v_mov_b32_dpp v7, v1 row_ror:4 row_mask:0xf bank_mask:0xf
	s_delay_alu instid0(VALU_DEP_1) | instskip(NEXT) | instid1(VALU_DEP_1)
	v_add_nc_u32_e32 v1, v1, v7
	v_mov_b32_dpp v7, v1 row_ror:8 row_mask:0xf bank_mask:0xf
	s_delay_alu instid0(VALU_DEP_1)
	v_add_nc_u32_e32 v1, v1, v7
	ds_swizzle_b32 v7, v1 offset:swizzle(BROADCAST,32,15)
	s_waitcnt lgkmcnt(0)
	v_add_nc_u32_e32 v1, v1, v7
	ds_bpermute_b32 v1, v2, v1
	s_and_saveexec_b32 s5, vcc_lo
	s_cbranch_execz .LBB5_4
; %bb.3:                                ;   in Loop: Header=BB5_2 Depth=1
	s_waitcnt lgkmcnt(0)
	ds_store_b32 v3, v1
.LBB5_4:                                ;   in Loop: Header=BB5_2 Depth=1
	s_or_b32 exec_lo, exec_lo, s5
	s_waitcnt lgkmcnt(0)
	s_barrier
	buffer_gl0_inv
	s_and_saveexec_b32 s5, s0
	s_cbranch_execz .LBB5_1
; %bb.5:                                ;   in Loop: Header=BB5_2 Depth=1
	ds_load_b32 v1, v5
	s_waitcnt lgkmcnt(0)
	ds_bpermute_b32 v7, v4, v1
	s_waitcnt lgkmcnt(0)
	v_add_nc_u32_e32 v1, v7, v1
	s_branch .LBB5_1
.LBB5_6:
	s_set_inst_prefetch_distance 0x2
	s_mov_b32 s5, 0
	s_mov_b32 s0, exec_lo
	v_cmpx_eq_u32_e32 0, v0
	s_cbranch_execz .LBB5_8
; %bb.7:
	s_lshl_b64 s[0:1], s[4:5], 2
	v_mov_b32_e32 v0, 0
	s_add_u32 s0, s2, s0
	s_addc_u32 s1, s3, s1
	global_store_b32 v0, v1, s[0:1]
.LBB5_8:
	s_nop 0
	s_sendmsg sendmsg(MSG_DEALLOC_VGPRS)
	s_endpgm
	.section	.rodata,"a",@progbits
	.p2align	6, 0x0
	.amdhsa_kernel _Z6kernelI6reduceILN6hipcub20BlockReduceAlgorithmE0EEiLj64ELj11ELj100EEvPKT0_PS4_
		.amdhsa_group_segment_fixed_size 8
		.amdhsa_private_segment_fixed_size 0
		.amdhsa_kernarg_size 272
		.amdhsa_user_sgpr_count 15
		.amdhsa_user_sgpr_dispatch_ptr 0
		.amdhsa_user_sgpr_queue_ptr 0
		.amdhsa_user_sgpr_kernarg_segment_ptr 1
		.amdhsa_user_sgpr_dispatch_id 0
		.amdhsa_user_sgpr_private_segment_size 0
		.amdhsa_wavefront_size32 1
		.amdhsa_uses_dynamic_stack 0
		.amdhsa_enable_private_segment 0
		.amdhsa_system_sgpr_workgroup_id_x 1
		.amdhsa_system_sgpr_workgroup_id_y 0
		.amdhsa_system_sgpr_workgroup_id_z 0
		.amdhsa_system_sgpr_workgroup_info 0
		.amdhsa_system_vgpr_workitem_id 0
		.amdhsa_next_free_vgpr 25
		.amdhsa_next_free_sgpr 16
		.amdhsa_reserve_vcc 1
		.amdhsa_float_round_mode_32 0
		.amdhsa_float_round_mode_16_64 0
		.amdhsa_float_denorm_mode_32 3
		.amdhsa_float_denorm_mode_16_64 3
		.amdhsa_dx10_clamp 1
		.amdhsa_ieee_mode 1
		.amdhsa_fp16_overflow 0
		.amdhsa_workgroup_processor_mode 1
		.amdhsa_memory_ordered 1
		.amdhsa_forward_progress 0
		.amdhsa_shared_vgpr_count 0
		.amdhsa_exception_fp_ieee_invalid_op 0
		.amdhsa_exception_fp_denorm_src 0
		.amdhsa_exception_fp_ieee_div_zero 0
		.amdhsa_exception_fp_ieee_overflow 0
		.amdhsa_exception_fp_ieee_underflow 0
		.amdhsa_exception_fp_ieee_inexact 0
		.amdhsa_exception_int_div_zero 0
	.end_amdhsa_kernel
	.section	.text._Z6kernelI6reduceILN6hipcub20BlockReduceAlgorithmE0EEiLj64ELj11ELj100EEvPKT0_PS4_,"axG",@progbits,_Z6kernelI6reduceILN6hipcub20BlockReduceAlgorithmE0EEiLj64ELj11ELj100EEvPKT0_PS4_,comdat
.Lfunc_end5:
	.size	_Z6kernelI6reduceILN6hipcub20BlockReduceAlgorithmE0EEiLj64ELj11ELj100EEvPKT0_PS4_, .Lfunc_end5-_Z6kernelI6reduceILN6hipcub20BlockReduceAlgorithmE0EEiLj64ELj11ELj100EEvPKT0_PS4_
                                        ; -- End function
	.section	.AMDGPU.csdata,"",@progbits
; Kernel info:
; codeLenInByte = 856
; NumSgprs: 18
; NumVgprs: 25
; ScratchSize: 0
; MemoryBound: 0
; FloatMode: 240
; IeeeMode: 1
; LDSByteSize: 8 bytes/workgroup (compile time only)
; SGPRBlocks: 2
; VGPRBlocks: 3
; NumSGPRsForWavesPerEU: 18
; NumVGPRsForWavesPerEU: 25
; Occupancy: 16
; WaveLimiterHint : 0
; COMPUTE_PGM_RSRC2:SCRATCH_EN: 0
; COMPUTE_PGM_RSRC2:USER_SGPR: 15
; COMPUTE_PGM_RSRC2:TRAP_HANDLER: 0
; COMPUTE_PGM_RSRC2:TGID_X_EN: 1
; COMPUTE_PGM_RSRC2:TGID_Y_EN: 0
; COMPUTE_PGM_RSRC2:TGID_Z_EN: 0
; COMPUTE_PGM_RSRC2:TIDIG_COMP_CNT: 0
	.section	.text._Z6kernelI6reduceILN6hipcub20BlockReduceAlgorithmE0EEiLj64ELj16ELj100EEvPKT0_PS4_,"axG",@progbits,_Z6kernelI6reduceILN6hipcub20BlockReduceAlgorithmE0EEiLj64ELj16ELj100EEvPKT0_PS4_,comdat
	.protected	_Z6kernelI6reduceILN6hipcub20BlockReduceAlgorithmE0EEiLj64ELj16ELj100EEvPKT0_PS4_ ; -- Begin function _Z6kernelI6reduceILN6hipcub20BlockReduceAlgorithmE0EEiLj64ELj16ELj100EEvPKT0_PS4_
	.globl	_Z6kernelI6reduceILN6hipcub20BlockReduceAlgorithmE0EEiLj64ELj16ELj100EEvPKT0_PS4_
	.p2align	8
	.type	_Z6kernelI6reduceILN6hipcub20BlockReduceAlgorithmE0EEiLj64ELj16ELj100EEvPKT0_PS4_,@function
_Z6kernelI6reduceILN6hipcub20BlockReduceAlgorithmE0EEiLj64ELj16ELj100EEvPKT0_PS4_: ; @_Z6kernelI6reduceILN6hipcub20BlockReduceAlgorithmE0EEiLj64ELj16ELj100EEvPKT0_PS4_
; %bb.0:
	s_clause 0x1
	s_load_b32 s5, s[0:1], 0x1c
	s_load_b128 s[0:3], s[0:1], 0x0
	v_mov_b32_e32 v2, 0
	s_mov_b32 s4, s15
	s_waitcnt lgkmcnt(0)
	s_and_b32 s5, s5, 0xffff
	s_delay_alu instid0(SALU_CYCLE_1) | instskip(NEXT) | instid1(SALU_CYCLE_1)
	s_mul_i32 s5, s15, s5
	v_add_lshl_u32 v1, s5, v0, 4
	s_delay_alu instid0(VALU_DEP_1) | instskip(NEXT) | instid1(VALU_DEP_1)
	v_lshlrev_b64 v[1:2], 2, v[1:2]
	v_add_co_u32 v13, vcc_lo, s0, v1
	s_delay_alu instid0(VALU_DEP_2)
	v_add_co_ci_u32_e32 v14, vcc_lo, s1, v2, vcc_lo
	v_cmp_gt_u32_e64 s0, 32, v0
	s_movk_i32 s1, 0x64
	s_clause 0x3
	global_load_b128 v[1:4], v[13:14], off
	global_load_b128 v[5:8], v[13:14], off offset:16
	global_load_b128 v[9:12], v[13:14], off offset:32
	;; [unrolled: 1-line block ×3, first 2 shown]
	s_waitcnt vmcnt(3)
	v_add3_u32 v2, v3, v2, v4
	v_mbcnt_lo_u32_b32 v4, -1, 0
	s_waitcnt vmcnt(2)
	s_delay_alu instid0(VALU_DEP_2) | instskip(SKIP_1) | instid1(VALU_DEP_3)
	v_add3_u32 v2, v2, v5, v6
	v_lshrrev_b32_e32 v5, 3, v0
	v_and_b32_e32 v6, 1, v4
	v_cmp_eq_u32_e32 vcc_lo, 0, v4
	v_lshl_or_b32 v4, v4, 2, 4
	v_add3_u32 v2, v2, v7, v8
	s_waitcnt vmcnt(1)
	s_delay_alu instid0(VALU_DEP_1) | instskip(NEXT) | instid1(VALU_DEP_1)
	v_add3_u32 v2, v2, v9, v10
	v_add3_u32 v3, v2, v11, v12
	v_mov_b32_e32 v2, 0x7c
	s_waitcnt vmcnt(0)
	s_delay_alu instid0(VALU_DEP_2) | instskip(SKIP_2) | instid1(VALU_DEP_3)
	v_add3_u32 v7, v3, v13, v14
	v_and_b32_e32 v3, 4, v5
	v_lshlrev_b32_e32 v5, 2, v6
	v_add3_u32 v6, v7, v15, v16
	s_set_inst_prefetch_distance 0x1
	s_branch .LBB6_2
	.p2align	6
.LBB6_1:                                ;   in Loop: Header=BB6_2 Depth=1
	s_or_b32 exec_lo, exec_lo, s5
	s_add_i32 s1, s1, -1
	s_delay_alu instid0(SALU_CYCLE_1)
	s_cmp_eq_u32 s1, 0
	s_cbranch_scc1 .LBB6_6
.LBB6_2:                                ; =>This Inner Loop Header: Depth=1
	s_delay_alu instid0(VALU_DEP_1) | instskip(NEXT) | instid1(VALU_DEP_1)
	v_add_nc_u32_e32 v1, v6, v1
	v_mov_b32_dpp v7, v1 quad_perm:[1,0,3,2] row_mask:0xf bank_mask:0xf
	s_delay_alu instid0(VALU_DEP_1) | instskip(NEXT) | instid1(VALU_DEP_1)
	v_add_nc_u32_e32 v1, v1, v7
	v_mov_b32_dpp v7, v1 quad_perm:[2,3,0,1] row_mask:0xf bank_mask:0xf
	s_delay_alu instid0(VALU_DEP_1) | instskip(NEXT) | instid1(VALU_DEP_1)
	v_add_nc_u32_e32 v1, v1, v7
	v_mov_b32_dpp v7, v1 row_ror:4 row_mask:0xf bank_mask:0xf
	s_delay_alu instid0(VALU_DEP_1) | instskip(NEXT) | instid1(VALU_DEP_1)
	v_add_nc_u32_e32 v1, v1, v7
	v_mov_b32_dpp v7, v1 row_ror:8 row_mask:0xf bank_mask:0xf
	s_delay_alu instid0(VALU_DEP_1)
	v_add_nc_u32_e32 v1, v1, v7
	ds_swizzle_b32 v7, v1 offset:swizzle(BROADCAST,32,15)
	s_waitcnt lgkmcnt(0)
	v_add_nc_u32_e32 v1, v1, v7
	ds_bpermute_b32 v1, v2, v1
	s_and_saveexec_b32 s5, vcc_lo
	s_cbranch_execz .LBB6_4
; %bb.3:                                ;   in Loop: Header=BB6_2 Depth=1
	s_waitcnt lgkmcnt(0)
	ds_store_b32 v3, v1
.LBB6_4:                                ;   in Loop: Header=BB6_2 Depth=1
	s_or_b32 exec_lo, exec_lo, s5
	s_waitcnt lgkmcnt(0)
	s_barrier
	buffer_gl0_inv
	s_and_saveexec_b32 s5, s0
	s_cbranch_execz .LBB6_1
; %bb.5:                                ;   in Loop: Header=BB6_2 Depth=1
	ds_load_b32 v1, v5
	s_waitcnt lgkmcnt(0)
	ds_bpermute_b32 v7, v4, v1
	s_waitcnt lgkmcnt(0)
	v_add_nc_u32_e32 v1, v7, v1
	s_branch .LBB6_1
.LBB6_6:
	s_set_inst_prefetch_distance 0x2
	s_mov_b32 s5, 0
	s_mov_b32 s0, exec_lo
	v_cmpx_eq_u32_e32 0, v0
	s_cbranch_execz .LBB6_8
; %bb.7:
	s_lshl_b64 s[0:1], s[4:5], 2
	v_mov_b32_e32 v0, 0
	s_add_u32 s0, s2, s0
	s_addc_u32 s1, s3, s1
	global_store_b32 v0, v1, s[0:1]
.LBB6_8:
	s_nop 0
	s_sendmsg sendmsg(MSG_DEALLOC_VGPRS)
	s_endpgm
	.section	.rodata,"a",@progbits
	.p2align	6, 0x0
	.amdhsa_kernel _Z6kernelI6reduceILN6hipcub20BlockReduceAlgorithmE0EEiLj64ELj16ELj100EEvPKT0_PS4_
		.amdhsa_group_segment_fixed_size 8
		.amdhsa_private_segment_fixed_size 0
		.amdhsa_kernarg_size 272
		.amdhsa_user_sgpr_count 15
		.amdhsa_user_sgpr_dispatch_ptr 0
		.amdhsa_user_sgpr_queue_ptr 0
		.amdhsa_user_sgpr_kernarg_segment_ptr 1
		.amdhsa_user_sgpr_dispatch_id 0
		.amdhsa_user_sgpr_private_segment_size 0
		.amdhsa_wavefront_size32 1
		.amdhsa_uses_dynamic_stack 0
		.amdhsa_enable_private_segment 0
		.amdhsa_system_sgpr_workgroup_id_x 1
		.amdhsa_system_sgpr_workgroup_id_y 0
		.amdhsa_system_sgpr_workgroup_id_z 0
		.amdhsa_system_sgpr_workgroup_info 0
		.amdhsa_system_vgpr_workitem_id 0
		.amdhsa_next_free_vgpr 17
		.amdhsa_next_free_sgpr 16
		.amdhsa_reserve_vcc 1
		.amdhsa_float_round_mode_32 0
		.amdhsa_float_round_mode_16_64 0
		.amdhsa_float_denorm_mode_32 3
		.amdhsa_float_denorm_mode_16_64 3
		.amdhsa_dx10_clamp 1
		.amdhsa_ieee_mode 1
		.amdhsa_fp16_overflow 0
		.amdhsa_workgroup_processor_mode 1
		.amdhsa_memory_ordered 1
		.amdhsa_forward_progress 0
		.amdhsa_shared_vgpr_count 0
		.amdhsa_exception_fp_ieee_invalid_op 0
		.amdhsa_exception_fp_denorm_src 0
		.amdhsa_exception_fp_ieee_div_zero 0
		.amdhsa_exception_fp_ieee_overflow 0
		.amdhsa_exception_fp_ieee_underflow 0
		.amdhsa_exception_fp_ieee_inexact 0
		.amdhsa_exception_int_div_zero 0
	.end_amdhsa_kernel
	.section	.text._Z6kernelI6reduceILN6hipcub20BlockReduceAlgorithmE0EEiLj64ELj16ELj100EEvPKT0_PS4_,"axG",@progbits,_Z6kernelI6reduceILN6hipcub20BlockReduceAlgorithmE0EEiLj64ELj16ELj100EEvPKT0_PS4_,comdat
.Lfunc_end6:
	.size	_Z6kernelI6reduceILN6hipcub20BlockReduceAlgorithmE0EEiLj64ELj16ELj100EEvPKT0_PS4_, .Lfunc_end6-_Z6kernelI6reduceILN6hipcub20BlockReduceAlgorithmE0EEiLj64ELj16ELj100EEvPKT0_PS4_
                                        ; -- End function
	.section	.AMDGPU.csdata,"",@progbits
; Kernel info:
; codeLenInByte = 520
; NumSgprs: 18
; NumVgprs: 17
; ScratchSize: 0
; MemoryBound: 0
; FloatMode: 240
; IeeeMode: 1
; LDSByteSize: 8 bytes/workgroup (compile time only)
; SGPRBlocks: 2
; VGPRBlocks: 2
; NumSGPRsForWavesPerEU: 18
; NumVGPRsForWavesPerEU: 17
; Occupancy: 16
; WaveLimiterHint : 0
; COMPUTE_PGM_RSRC2:SCRATCH_EN: 0
; COMPUTE_PGM_RSRC2:USER_SGPR: 15
; COMPUTE_PGM_RSRC2:TRAP_HANDLER: 0
; COMPUTE_PGM_RSRC2:TGID_X_EN: 1
; COMPUTE_PGM_RSRC2:TGID_Y_EN: 0
; COMPUTE_PGM_RSRC2:TGID_Z_EN: 0
; COMPUTE_PGM_RSRC2:TIDIG_COMP_CNT: 0
	.section	.text._Z6kernelI6reduceILN6hipcub20BlockReduceAlgorithmE0EEfLj64ELj1ELj100EEvPKT0_PS4_,"axG",@progbits,_Z6kernelI6reduceILN6hipcub20BlockReduceAlgorithmE0EEfLj64ELj1ELj100EEvPKT0_PS4_,comdat
	.protected	_Z6kernelI6reduceILN6hipcub20BlockReduceAlgorithmE0EEfLj64ELj1ELj100EEvPKT0_PS4_ ; -- Begin function _Z6kernelI6reduceILN6hipcub20BlockReduceAlgorithmE0EEfLj64ELj1ELj100EEvPKT0_PS4_
	.globl	_Z6kernelI6reduceILN6hipcub20BlockReduceAlgorithmE0EEfLj64ELj1ELj100EEvPKT0_PS4_
	.p2align	8
	.type	_Z6kernelI6reduceILN6hipcub20BlockReduceAlgorithmE0EEfLj64ELj1ELj100EEvPKT0_PS4_,@function
_Z6kernelI6reduceILN6hipcub20BlockReduceAlgorithmE0EEfLj64ELj1ELj100EEvPKT0_PS4_: ; @_Z6kernelI6reduceILN6hipcub20BlockReduceAlgorithmE0EEfLj64ELj1ELj100EEvPKT0_PS4_
; %bb.0:
	s_clause 0x1
	s_load_b32 s5, s[0:1], 0x1c
	s_load_b128 s[0:3], s[0:1], 0x0
	s_mov_b32 s4, s15
	v_lshrrev_b32_e32 v3, 3, v0
	v_mbcnt_lo_u32_b32 v5, -1, 0
	s_delay_alu instid0(VALU_DEP_2) | instskip(NEXT) | instid1(VALU_DEP_2)
	v_and_b32_e32 v3, 4, v3
	v_and_b32_e32 v4, 1, v5
	s_delay_alu instid0(VALU_DEP_1) | instskip(SKIP_2) | instid1(SALU_CYCLE_1)
	v_lshlrev_b32_e32 v4, 2, v4
	s_waitcnt lgkmcnt(0)
	s_and_b32 s5, s5, 0xffff
	v_mad_u64_u32 v[1:2], null, s4, s5, v[0:1]
	v_mov_b32_e32 v2, 0
	s_delay_alu instid0(VALU_DEP_1) | instskip(NEXT) | instid1(VALU_DEP_1)
	v_lshlrev_b64 v[1:2], 2, v[1:2]
	v_add_co_u32 v1, vcc_lo, s0, v1
	s_delay_alu instid0(VALU_DEP_2)
	v_add_co_ci_u32_e32 v2, vcc_lo, s1, v2, vcc_lo
	v_cmp_eq_u32_e32 vcc_lo, 0, v5
	v_cmp_gt_u32_e64 s0, 32, v0
	v_lshl_or_b32 v5, v5, 2, 4
	global_load_b32 v1, v[1:2], off
	v_mov_b32_e32 v2, 0x7c
	s_movk_i32 s1, 0x64
	s_set_inst_prefetch_distance 0x1
	s_branch .LBB7_2
	.p2align	6
.LBB7_1:                                ;   in Loop: Header=BB7_2 Depth=1
	s_or_b32 exec_lo, exec_lo, s5
	s_add_i32 s1, s1, -1
	s_delay_alu instid0(SALU_CYCLE_1)
	s_cmp_eq_u32 s1, 0
	s_cbranch_scc1 .LBB7_6
.LBB7_2:                                ; =>This Inner Loop Header: Depth=1
	s_waitcnt vmcnt(0)
	v_mov_b32_dpp v6, v1 quad_perm:[1,0,3,2] row_mask:0xf bank_mask:0xf
	s_delay_alu instid0(VALU_DEP_1) | instskip(NEXT) | instid1(VALU_DEP_1)
	v_add_f32_e32 v1, v1, v6
	v_mov_b32_dpp v6, v1 quad_perm:[2,3,0,1] row_mask:0xf bank_mask:0xf
	s_delay_alu instid0(VALU_DEP_1) | instskip(NEXT) | instid1(VALU_DEP_1)
	v_add_f32_e32 v1, v1, v6
	v_mov_b32_dpp v6, v1 row_ror:4 row_mask:0xf bank_mask:0xf
	s_delay_alu instid0(VALU_DEP_1) | instskip(NEXT) | instid1(VALU_DEP_1)
	v_add_f32_e32 v1, v1, v6
	v_mov_b32_dpp v6, v1 row_ror:8 row_mask:0xf bank_mask:0xf
	s_delay_alu instid0(VALU_DEP_1)
	v_add_f32_e32 v1, v1, v6
	ds_swizzle_b32 v6, v1 offset:swizzle(BROADCAST,32,15)
	s_waitcnt lgkmcnt(0)
	v_add_f32_e32 v1, v1, v6
	ds_bpermute_b32 v1, v2, v1
	s_and_saveexec_b32 s5, vcc_lo
	s_cbranch_execz .LBB7_4
; %bb.3:                                ;   in Loop: Header=BB7_2 Depth=1
	s_waitcnt lgkmcnt(0)
	ds_store_b32 v3, v1
.LBB7_4:                                ;   in Loop: Header=BB7_2 Depth=1
	s_or_b32 exec_lo, exec_lo, s5
	s_waitcnt lgkmcnt(0)
	s_barrier
	buffer_gl0_inv
	s_and_saveexec_b32 s5, s0
	s_cbranch_execz .LBB7_1
; %bb.5:                                ;   in Loop: Header=BB7_2 Depth=1
	ds_load_b32 v1, v4
	s_waitcnt lgkmcnt(0)
	ds_bpermute_b32 v6, v5, v1
	s_waitcnt lgkmcnt(0)
	v_add_f32_e32 v1, v1, v6
	s_branch .LBB7_1
.LBB7_6:
	s_set_inst_prefetch_distance 0x2
	s_mov_b32 s5, 0
	s_mov_b32 s0, exec_lo
	v_cmpx_eq_u32_e32 0, v0
	s_cbranch_execz .LBB7_8
; %bb.7:
	s_lshl_b64 s[0:1], s[4:5], 2
	v_mov_b32_e32 v0, 0
	s_add_u32 s0, s2, s0
	s_addc_u32 s1, s3, s1
	global_store_b32 v0, v1, s[0:1]
.LBB7_8:
	s_nop 0
	s_sendmsg sendmsg(MSG_DEALLOC_VGPRS)
	s_endpgm
	.section	.rodata,"a",@progbits
	.p2align	6, 0x0
	.amdhsa_kernel _Z6kernelI6reduceILN6hipcub20BlockReduceAlgorithmE0EEfLj64ELj1ELj100EEvPKT0_PS4_
		.amdhsa_group_segment_fixed_size 8
		.amdhsa_private_segment_fixed_size 0
		.amdhsa_kernarg_size 272
		.amdhsa_user_sgpr_count 15
		.amdhsa_user_sgpr_dispatch_ptr 0
		.amdhsa_user_sgpr_queue_ptr 0
		.amdhsa_user_sgpr_kernarg_segment_ptr 1
		.amdhsa_user_sgpr_dispatch_id 0
		.amdhsa_user_sgpr_private_segment_size 0
		.amdhsa_wavefront_size32 1
		.amdhsa_uses_dynamic_stack 0
		.amdhsa_enable_private_segment 0
		.amdhsa_system_sgpr_workgroup_id_x 1
		.amdhsa_system_sgpr_workgroup_id_y 0
		.amdhsa_system_sgpr_workgroup_id_z 0
		.amdhsa_system_sgpr_workgroup_info 0
		.amdhsa_system_vgpr_workitem_id 0
		.amdhsa_next_free_vgpr 7
		.amdhsa_next_free_sgpr 16
		.amdhsa_reserve_vcc 1
		.amdhsa_float_round_mode_32 0
		.amdhsa_float_round_mode_16_64 0
		.amdhsa_float_denorm_mode_32 3
		.amdhsa_float_denorm_mode_16_64 3
		.amdhsa_dx10_clamp 1
		.amdhsa_ieee_mode 1
		.amdhsa_fp16_overflow 0
		.amdhsa_workgroup_processor_mode 1
		.amdhsa_memory_ordered 1
		.amdhsa_forward_progress 0
		.amdhsa_shared_vgpr_count 0
		.amdhsa_exception_fp_ieee_invalid_op 0
		.amdhsa_exception_fp_denorm_src 0
		.amdhsa_exception_fp_ieee_div_zero 0
		.amdhsa_exception_fp_ieee_overflow 0
		.amdhsa_exception_fp_ieee_underflow 0
		.amdhsa_exception_fp_ieee_inexact 0
		.amdhsa_exception_int_div_zero 0
	.end_amdhsa_kernel
	.section	.text._Z6kernelI6reduceILN6hipcub20BlockReduceAlgorithmE0EEfLj64ELj1ELj100EEvPKT0_PS4_,"axG",@progbits,_Z6kernelI6reduceILN6hipcub20BlockReduceAlgorithmE0EEfLj64ELj1ELj100EEvPKT0_PS4_,comdat
.Lfunc_end7:
	.size	_Z6kernelI6reduceILN6hipcub20BlockReduceAlgorithmE0EEfLj64ELj1ELj100EEvPKT0_PS4_, .Lfunc_end7-_Z6kernelI6reduceILN6hipcub20BlockReduceAlgorithmE0EEfLj64ELj1ELj100EEvPKT0_PS4_
                                        ; -- End function
	.section	.AMDGPU.csdata,"",@progbits
; Kernel info:
; codeLenInByte = 404
; NumSgprs: 18
; NumVgprs: 7
; ScratchSize: 0
; MemoryBound: 0
; FloatMode: 240
; IeeeMode: 1
; LDSByteSize: 8 bytes/workgroup (compile time only)
; SGPRBlocks: 2
; VGPRBlocks: 0
; NumSGPRsForWavesPerEU: 18
; NumVGPRsForWavesPerEU: 7
; Occupancy: 16
; WaveLimiterHint : 0
; COMPUTE_PGM_RSRC2:SCRATCH_EN: 0
; COMPUTE_PGM_RSRC2:USER_SGPR: 15
; COMPUTE_PGM_RSRC2:TRAP_HANDLER: 0
; COMPUTE_PGM_RSRC2:TGID_X_EN: 1
; COMPUTE_PGM_RSRC2:TGID_Y_EN: 0
; COMPUTE_PGM_RSRC2:TGID_Z_EN: 0
; COMPUTE_PGM_RSRC2:TIDIG_COMP_CNT: 0
	.section	.text._Z6kernelI6reduceILN6hipcub20BlockReduceAlgorithmE0EEfLj64ELj2ELj100EEvPKT0_PS4_,"axG",@progbits,_Z6kernelI6reduceILN6hipcub20BlockReduceAlgorithmE0EEfLj64ELj2ELj100EEvPKT0_PS4_,comdat
	.protected	_Z6kernelI6reduceILN6hipcub20BlockReduceAlgorithmE0EEfLj64ELj2ELj100EEvPKT0_PS4_ ; -- Begin function _Z6kernelI6reduceILN6hipcub20BlockReduceAlgorithmE0EEfLj64ELj2ELj100EEvPKT0_PS4_
	.globl	_Z6kernelI6reduceILN6hipcub20BlockReduceAlgorithmE0EEfLj64ELj2ELj100EEvPKT0_PS4_
	.p2align	8
	.type	_Z6kernelI6reduceILN6hipcub20BlockReduceAlgorithmE0EEfLj64ELj2ELj100EEvPKT0_PS4_,@function
_Z6kernelI6reduceILN6hipcub20BlockReduceAlgorithmE0EEfLj64ELj2ELj100EEvPKT0_PS4_: ; @_Z6kernelI6reduceILN6hipcub20BlockReduceAlgorithmE0EEfLj64ELj2ELj100EEvPKT0_PS4_
; %bb.0:
	s_clause 0x1
	s_load_b32 s5, s[0:1], 0x1c
	s_load_b128 s[0:3], s[0:1], 0x0
	v_mbcnt_lo_u32_b32 v6, -1, 0
	v_mov_b32_e32 v2, 0
	v_lshrrev_b32_e32 v4, 3, v0
	v_mov_b32_e32 v3, 0x7c
	s_mov_b32 s4, s15
	v_and_b32_e32 v5, 1, v6
	s_delay_alu instid0(VALU_DEP_3) | instskip(NEXT) | instid1(VALU_DEP_2)
	v_and_b32_e32 v4, 4, v4
	v_lshlrev_b32_e32 v5, 2, v5
	s_waitcnt lgkmcnt(0)
	s_and_b32 s5, s5, 0xffff
	s_delay_alu instid0(SALU_CYCLE_1) | instskip(NEXT) | instid1(SALU_CYCLE_1)
	s_mul_i32 s5, s15, s5
	v_add_lshl_u32 v1, s5, v0, 1
	s_delay_alu instid0(VALU_DEP_1) | instskip(NEXT) | instid1(VALU_DEP_1)
	v_lshlrev_b64 v[1:2], 2, v[1:2]
	v_add_co_u32 v1, vcc_lo, s0, v1
	s_delay_alu instid0(VALU_DEP_2)
	v_add_co_ci_u32_e32 v2, vcc_lo, s1, v2, vcc_lo
	v_cmp_eq_u32_e32 vcc_lo, 0, v6
	v_cmp_gt_u32_e64 s0, 32, v0
	v_lshl_or_b32 v6, v6, 2, 4
	global_load_b64 v[1:2], v[1:2], off
	s_movk_i32 s1, 0x64
	s_set_inst_prefetch_distance 0x1
	s_branch .LBB8_2
	.p2align	6
.LBB8_1:                                ;   in Loop: Header=BB8_2 Depth=1
	s_or_b32 exec_lo, exec_lo, s5
	s_add_i32 s1, s1, -1
	s_delay_alu instid0(SALU_CYCLE_1)
	s_cmp_eq_u32 s1, 0
	s_cbranch_scc1 .LBB8_6
.LBB8_2:                                ; =>This Inner Loop Header: Depth=1
	s_waitcnt vmcnt(0)
	v_add_f32_e32 v1, v1, v2
	s_delay_alu instid0(VALU_DEP_1) | instskip(NEXT) | instid1(VALU_DEP_1)
	v_mov_b32_dpp v7, v1 quad_perm:[1,0,3,2] row_mask:0xf bank_mask:0xf
	v_add_f32_e32 v1, v1, v7
	s_delay_alu instid0(VALU_DEP_1) | instskip(NEXT) | instid1(VALU_DEP_1)
	v_mov_b32_dpp v7, v1 quad_perm:[2,3,0,1] row_mask:0xf bank_mask:0xf
	v_add_f32_e32 v1, v1, v7
	s_delay_alu instid0(VALU_DEP_1) | instskip(NEXT) | instid1(VALU_DEP_1)
	v_mov_b32_dpp v7, v1 row_ror:4 row_mask:0xf bank_mask:0xf
	v_add_f32_e32 v1, v1, v7
	s_delay_alu instid0(VALU_DEP_1) | instskip(NEXT) | instid1(VALU_DEP_1)
	v_mov_b32_dpp v7, v1 row_ror:8 row_mask:0xf bank_mask:0xf
	v_add_f32_e32 v1, v1, v7
	ds_swizzle_b32 v7, v1 offset:swizzle(BROADCAST,32,15)
	s_waitcnt lgkmcnt(0)
	v_add_f32_e32 v1, v1, v7
	ds_bpermute_b32 v1, v3, v1
	s_and_saveexec_b32 s5, vcc_lo
	s_cbranch_execz .LBB8_4
; %bb.3:                                ;   in Loop: Header=BB8_2 Depth=1
	s_waitcnt lgkmcnt(0)
	ds_store_b32 v4, v1
.LBB8_4:                                ;   in Loop: Header=BB8_2 Depth=1
	s_or_b32 exec_lo, exec_lo, s5
	s_waitcnt lgkmcnt(0)
	s_barrier
	buffer_gl0_inv
	s_and_saveexec_b32 s5, s0
	s_cbranch_execz .LBB8_1
; %bb.5:                                ;   in Loop: Header=BB8_2 Depth=1
	ds_load_b32 v1, v5
	s_waitcnt lgkmcnt(0)
	ds_bpermute_b32 v7, v6, v1
	s_waitcnt lgkmcnt(0)
	v_add_f32_e32 v1, v1, v7
	s_branch .LBB8_1
.LBB8_6:
	s_set_inst_prefetch_distance 0x2
	s_mov_b32 s5, 0
	s_mov_b32 s0, exec_lo
	v_cmpx_eq_u32_e32 0, v0
	s_cbranch_execz .LBB8_8
; %bb.7:
	s_lshl_b64 s[0:1], s[4:5], 2
	v_mov_b32_e32 v0, 0
	s_add_u32 s0, s2, s0
	s_addc_u32 s1, s3, s1
	global_store_b32 v0, v1, s[0:1]
.LBB8_8:
	s_nop 0
	s_sendmsg sendmsg(MSG_DEALLOC_VGPRS)
	s_endpgm
	.section	.rodata,"a",@progbits
	.p2align	6, 0x0
	.amdhsa_kernel _Z6kernelI6reduceILN6hipcub20BlockReduceAlgorithmE0EEfLj64ELj2ELj100EEvPKT0_PS4_
		.amdhsa_group_segment_fixed_size 8
		.amdhsa_private_segment_fixed_size 0
		.amdhsa_kernarg_size 272
		.amdhsa_user_sgpr_count 15
		.amdhsa_user_sgpr_dispatch_ptr 0
		.amdhsa_user_sgpr_queue_ptr 0
		.amdhsa_user_sgpr_kernarg_segment_ptr 1
		.amdhsa_user_sgpr_dispatch_id 0
		.amdhsa_user_sgpr_private_segment_size 0
		.amdhsa_wavefront_size32 1
		.amdhsa_uses_dynamic_stack 0
		.amdhsa_enable_private_segment 0
		.amdhsa_system_sgpr_workgroup_id_x 1
		.amdhsa_system_sgpr_workgroup_id_y 0
		.amdhsa_system_sgpr_workgroup_id_z 0
		.amdhsa_system_sgpr_workgroup_info 0
		.amdhsa_system_vgpr_workitem_id 0
		.amdhsa_next_free_vgpr 8
		.amdhsa_next_free_sgpr 16
		.amdhsa_reserve_vcc 1
		.amdhsa_float_round_mode_32 0
		.amdhsa_float_round_mode_16_64 0
		.amdhsa_float_denorm_mode_32 3
		.amdhsa_float_denorm_mode_16_64 3
		.amdhsa_dx10_clamp 1
		.amdhsa_ieee_mode 1
		.amdhsa_fp16_overflow 0
		.amdhsa_workgroup_processor_mode 1
		.amdhsa_memory_ordered 1
		.amdhsa_forward_progress 0
		.amdhsa_shared_vgpr_count 0
		.amdhsa_exception_fp_ieee_invalid_op 0
		.amdhsa_exception_fp_denorm_src 0
		.amdhsa_exception_fp_ieee_div_zero 0
		.amdhsa_exception_fp_ieee_overflow 0
		.amdhsa_exception_fp_ieee_underflow 0
		.amdhsa_exception_fp_ieee_inexact 0
		.amdhsa_exception_int_div_zero 0
	.end_amdhsa_kernel
	.section	.text._Z6kernelI6reduceILN6hipcub20BlockReduceAlgorithmE0EEfLj64ELj2ELj100EEvPKT0_PS4_,"axG",@progbits,_Z6kernelI6reduceILN6hipcub20BlockReduceAlgorithmE0EEfLj64ELj2ELj100EEvPKT0_PS4_,comdat
.Lfunc_end8:
	.size	_Z6kernelI6reduceILN6hipcub20BlockReduceAlgorithmE0EEfLj64ELj2ELj100EEvPKT0_PS4_, .Lfunc_end8-_Z6kernelI6reduceILN6hipcub20BlockReduceAlgorithmE0EEfLj64ELj2ELj100EEvPKT0_PS4_
                                        ; -- End function
	.section	.AMDGPU.csdata,"",@progbits
; Kernel info:
; codeLenInByte = 412
; NumSgprs: 18
; NumVgprs: 8
; ScratchSize: 0
; MemoryBound: 0
; FloatMode: 240
; IeeeMode: 1
; LDSByteSize: 8 bytes/workgroup (compile time only)
; SGPRBlocks: 2
; VGPRBlocks: 0
; NumSGPRsForWavesPerEU: 18
; NumVGPRsForWavesPerEU: 8
; Occupancy: 16
; WaveLimiterHint : 0
; COMPUTE_PGM_RSRC2:SCRATCH_EN: 0
; COMPUTE_PGM_RSRC2:USER_SGPR: 15
; COMPUTE_PGM_RSRC2:TRAP_HANDLER: 0
; COMPUTE_PGM_RSRC2:TGID_X_EN: 1
; COMPUTE_PGM_RSRC2:TGID_Y_EN: 0
; COMPUTE_PGM_RSRC2:TGID_Z_EN: 0
; COMPUTE_PGM_RSRC2:TIDIG_COMP_CNT: 0
	.section	.text._Z6kernelI6reduceILN6hipcub20BlockReduceAlgorithmE0EEfLj64ELj3ELj100EEvPKT0_PS4_,"axG",@progbits,_Z6kernelI6reduceILN6hipcub20BlockReduceAlgorithmE0EEfLj64ELj3ELj100EEvPKT0_PS4_,comdat
	.protected	_Z6kernelI6reduceILN6hipcub20BlockReduceAlgorithmE0EEfLj64ELj3ELj100EEvPKT0_PS4_ ; -- Begin function _Z6kernelI6reduceILN6hipcub20BlockReduceAlgorithmE0EEfLj64ELj3ELj100EEvPKT0_PS4_
	.globl	_Z6kernelI6reduceILN6hipcub20BlockReduceAlgorithmE0EEfLj64ELj3ELj100EEvPKT0_PS4_
	.p2align	8
	.type	_Z6kernelI6reduceILN6hipcub20BlockReduceAlgorithmE0EEfLj64ELj3ELj100EEvPKT0_PS4_,@function
_Z6kernelI6reduceILN6hipcub20BlockReduceAlgorithmE0EEfLj64ELj3ELj100EEvPKT0_PS4_: ; @_Z6kernelI6reduceILN6hipcub20BlockReduceAlgorithmE0EEfLj64ELj3ELj100EEvPKT0_PS4_
; %bb.0:
	s_load_b32 s2, s[0:1], 0x1c
	s_mov_b32 s4, s15
	s_waitcnt lgkmcnt(0)
	s_and_b32 s2, s2, 0xffff
	s_delay_alu instid0(SALU_CYCLE_1) | instskip(SKIP_1) | instid1(VALU_DEP_1)
	v_mad_u64_u32 v[1:2], null, s4, s2, v[0:1]
	s_load_b128 s[0:3], s[0:1], 0x0
	v_lshl_add_u32 v1, v1, 1, v1
	s_delay_alu instid0(VALU_DEP_1) | instskip(NEXT) | instid1(VALU_DEP_1)
	v_dual_mov_b32 v2, 0 :: v_dual_add_nc_u32 v3, 1, v1
	v_mov_b32_e32 v4, v2
	v_lshlrev_b64 v[5:6], 2, v[1:2]
	v_add_nc_u32_e32 v1, 2, v1
	s_delay_alu instid0(VALU_DEP_3) | instskip(NEXT) | instid1(VALU_DEP_2)
	v_lshlrev_b64 v[3:4], 2, v[3:4]
	v_lshlrev_b64 v[1:2], 2, v[1:2]
	s_waitcnt lgkmcnt(0)
	s_delay_alu instid0(VALU_DEP_4) | instskip(SKIP_1) | instid1(VALU_DEP_4)
	v_add_co_u32 v5, vcc_lo, s0, v5
	v_add_co_ci_u32_e32 v6, vcc_lo, s1, v6, vcc_lo
	v_add_co_u32 v3, vcc_lo, s0, v3
	v_add_co_ci_u32_e32 v4, vcc_lo, s1, v4, vcc_lo
	;; [unrolled: 2-line block ×3, first 2 shown]
	s_clause 0x2
	global_load_b32 v1, v[5:6], off
	global_load_b32 v2, v[3:4], off
	;; [unrolled: 1-line block ×3, first 2 shown]
	v_mbcnt_lo_u32_b32 v7, -1, 0
	v_lshrrev_b32_e32 v5, 3, v0
	v_mov_b32_e32 v4, 0x7c
	v_cmp_gt_u32_e64 s0, 32, v0
	s_movk_i32 s1, 0x64
	v_and_b32_e32 v6, 1, v7
	v_and_b32_e32 v5, 4, v5
	v_cmp_eq_u32_e32 vcc_lo, 0, v7
	v_lshl_or_b32 v7, v7, 2, 4
	s_delay_alu instid0(VALU_DEP_4)
	v_lshlrev_b32_e32 v6, 2, v6
	s_set_inst_prefetch_distance 0x1
	s_branch .LBB9_2
	.p2align	6
.LBB9_1:                                ;   in Loop: Header=BB9_2 Depth=1
	s_or_b32 exec_lo, exec_lo, s5
	s_add_i32 s1, s1, -1
	s_delay_alu instid0(SALU_CYCLE_1)
	s_cmp_eq_u32 s1, 0
	s_cbranch_scc1 .LBB9_6
.LBB9_2:                                ; =>This Inner Loop Header: Depth=1
	s_waitcnt vmcnt(1)
	v_add_f32_e32 v1, v1, v2
	s_waitcnt vmcnt(0)
	s_delay_alu instid0(VALU_DEP_1) | instskip(NEXT) | instid1(VALU_DEP_1)
	v_add_f32_e32 v1, v3, v1
	v_mov_b32_dpp v8, v1 quad_perm:[1,0,3,2] row_mask:0xf bank_mask:0xf
	s_delay_alu instid0(VALU_DEP_1) | instskip(NEXT) | instid1(VALU_DEP_1)
	v_add_f32_e32 v1, v1, v8
	v_mov_b32_dpp v8, v1 quad_perm:[2,3,0,1] row_mask:0xf bank_mask:0xf
	s_delay_alu instid0(VALU_DEP_1) | instskip(NEXT) | instid1(VALU_DEP_1)
	v_add_f32_e32 v1, v1, v8
	v_mov_b32_dpp v8, v1 row_ror:4 row_mask:0xf bank_mask:0xf
	s_delay_alu instid0(VALU_DEP_1) | instskip(NEXT) | instid1(VALU_DEP_1)
	v_add_f32_e32 v1, v1, v8
	v_mov_b32_dpp v8, v1 row_ror:8 row_mask:0xf bank_mask:0xf
	s_delay_alu instid0(VALU_DEP_1)
	v_add_f32_e32 v1, v1, v8
	ds_swizzle_b32 v8, v1 offset:swizzle(BROADCAST,32,15)
	s_waitcnt lgkmcnt(0)
	v_add_f32_e32 v1, v1, v8
	ds_bpermute_b32 v1, v4, v1
	s_and_saveexec_b32 s5, vcc_lo
	s_cbranch_execz .LBB9_4
; %bb.3:                                ;   in Loop: Header=BB9_2 Depth=1
	s_waitcnt lgkmcnt(0)
	ds_store_b32 v5, v1
.LBB9_4:                                ;   in Loop: Header=BB9_2 Depth=1
	s_or_b32 exec_lo, exec_lo, s5
	s_waitcnt lgkmcnt(0)
	s_barrier
	buffer_gl0_inv
	s_and_saveexec_b32 s5, s0
	s_cbranch_execz .LBB9_1
; %bb.5:                                ;   in Loop: Header=BB9_2 Depth=1
	ds_load_b32 v1, v6
	s_waitcnt lgkmcnt(0)
	ds_bpermute_b32 v8, v7, v1
	s_waitcnt lgkmcnt(0)
	v_add_f32_e32 v1, v1, v8
	s_branch .LBB9_1
.LBB9_6:
	s_set_inst_prefetch_distance 0x2
	s_mov_b32 s5, 0
	s_mov_b32 s0, exec_lo
	v_cmpx_eq_u32_e32 0, v0
	s_cbranch_execz .LBB9_8
; %bb.7:
	s_lshl_b64 s[0:1], s[4:5], 2
	v_mov_b32_e32 v0, 0
	s_add_u32 s0, s2, s0
	s_addc_u32 s1, s3, s1
	global_store_b32 v0, v1, s[0:1]
.LBB9_8:
	s_nop 0
	s_sendmsg sendmsg(MSG_DEALLOC_VGPRS)
	s_endpgm
	.section	.rodata,"a",@progbits
	.p2align	6, 0x0
	.amdhsa_kernel _Z6kernelI6reduceILN6hipcub20BlockReduceAlgorithmE0EEfLj64ELj3ELj100EEvPKT0_PS4_
		.amdhsa_group_segment_fixed_size 8
		.amdhsa_private_segment_fixed_size 0
		.amdhsa_kernarg_size 272
		.amdhsa_user_sgpr_count 15
		.amdhsa_user_sgpr_dispatch_ptr 0
		.amdhsa_user_sgpr_queue_ptr 0
		.amdhsa_user_sgpr_kernarg_segment_ptr 1
		.amdhsa_user_sgpr_dispatch_id 0
		.amdhsa_user_sgpr_private_segment_size 0
		.amdhsa_wavefront_size32 1
		.amdhsa_uses_dynamic_stack 0
		.amdhsa_enable_private_segment 0
		.amdhsa_system_sgpr_workgroup_id_x 1
		.amdhsa_system_sgpr_workgroup_id_y 0
		.amdhsa_system_sgpr_workgroup_id_z 0
		.amdhsa_system_sgpr_workgroup_info 0
		.amdhsa_system_vgpr_workitem_id 0
		.amdhsa_next_free_vgpr 9
		.amdhsa_next_free_sgpr 16
		.amdhsa_reserve_vcc 1
		.amdhsa_float_round_mode_32 0
		.amdhsa_float_round_mode_16_64 0
		.amdhsa_float_denorm_mode_32 3
		.amdhsa_float_denorm_mode_16_64 3
		.amdhsa_dx10_clamp 1
		.amdhsa_ieee_mode 1
		.amdhsa_fp16_overflow 0
		.amdhsa_workgroup_processor_mode 1
		.amdhsa_memory_ordered 1
		.amdhsa_forward_progress 0
		.amdhsa_shared_vgpr_count 0
		.amdhsa_exception_fp_ieee_invalid_op 0
		.amdhsa_exception_fp_denorm_src 0
		.amdhsa_exception_fp_ieee_div_zero 0
		.amdhsa_exception_fp_ieee_overflow 0
		.amdhsa_exception_fp_ieee_underflow 0
		.amdhsa_exception_fp_ieee_inexact 0
		.amdhsa_exception_int_div_zero 0
	.end_amdhsa_kernel
	.section	.text._Z6kernelI6reduceILN6hipcub20BlockReduceAlgorithmE0EEfLj64ELj3ELj100EEvPKT0_PS4_,"axG",@progbits,_Z6kernelI6reduceILN6hipcub20BlockReduceAlgorithmE0EEfLj64ELj3ELj100EEvPKT0_PS4_,comdat
.Lfunc_end9:
	.size	_Z6kernelI6reduceILN6hipcub20BlockReduceAlgorithmE0EEfLj64ELj3ELj100EEvPKT0_PS4_, .Lfunc_end9-_Z6kernelI6reduceILN6hipcub20BlockReduceAlgorithmE0EEfLj64ELj3ELj100EEvPKT0_PS4_
                                        ; -- End function
	.section	.AMDGPU.csdata,"",@progbits
; Kernel info:
; codeLenInByte = 504
; NumSgprs: 18
; NumVgprs: 9
; ScratchSize: 0
; MemoryBound: 0
; FloatMode: 240
; IeeeMode: 1
; LDSByteSize: 8 bytes/workgroup (compile time only)
; SGPRBlocks: 2
; VGPRBlocks: 1
; NumSGPRsForWavesPerEU: 18
; NumVGPRsForWavesPerEU: 9
; Occupancy: 16
; WaveLimiterHint : 0
; COMPUTE_PGM_RSRC2:SCRATCH_EN: 0
; COMPUTE_PGM_RSRC2:USER_SGPR: 15
; COMPUTE_PGM_RSRC2:TRAP_HANDLER: 0
; COMPUTE_PGM_RSRC2:TGID_X_EN: 1
; COMPUTE_PGM_RSRC2:TGID_Y_EN: 0
; COMPUTE_PGM_RSRC2:TGID_Z_EN: 0
; COMPUTE_PGM_RSRC2:TIDIG_COMP_CNT: 0
	.section	.text._Z6kernelI6reduceILN6hipcub20BlockReduceAlgorithmE0EEfLj64ELj4ELj100EEvPKT0_PS4_,"axG",@progbits,_Z6kernelI6reduceILN6hipcub20BlockReduceAlgorithmE0EEfLj64ELj4ELj100EEvPKT0_PS4_,comdat
	.protected	_Z6kernelI6reduceILN6hipcub20BlockReduceAlgorithmE0EEfLj64ELj4ELj100EEvPKT0_PS4_ ; -- Begin function _Z6kernelI6reduceILN6hipcub20BlockReduceAlgorithmE0EEfLj64ELj4ELj100EEvPKT0_PS4_
	.globl	_Z6kernelI6reduceILN6hipcub20BlockReduceAlgorithmE0EEfLj64ELj4ELj100EEvPKT0_PS4_
	.p2align	8
	.type	_Z6kernelI6reduceILN6hipcub20BlockReduceAlgorithmE0EEfLj64ELj4ELj100EEvPKT0_PS4_,@function
_Z6kernelI6reduceILN6hipcub20BlockReduceAlgorithmE0EEfLj64ELj4ELj100EEvPKT0_PS4_: ; @_Z6kernelI6reduceILN6hipcub20BlockReduceAlgorithmE0EEfLj64ELj4ELj100EEvPKT0_PS4_
; %bb.0:
	s_clause 0x1
	s_load_b32 s5, s[0:1], 0x1c
	s_load_b128 s[0:3], s[0:1], 0x0
	v_mbcnt_lo_u32_b32 v8, -1, 0
	v_mov_b32_e32 v2, 0
	v_lshrrev_b32_e32 v6, 3, v0
	v_mov_b32_e32 v5, 0x7c
	s_mov_b32 s4, s15
	v_and_b32_e32 v7, 1, v8
	s_delay_alu instid0(VALU_DEP_3) | instskip(NEXT) | instid1(VALU_DEP_2)
	v_and_b32_e32 v6, 4, v6
	v_lshlrev_b32_e32 v7, 2, v7
	s_waitcnt lgkmcnt(0)
	s_and_b32 s5, s5, 0xffff
	s_delay_alu instid0(SALU_CYCLE_1) | instskip(NEXT) | instid1(SALU_CYCLE_1)
	s_mul_i32 s5, s15, s5
	v_add_lshl_u32 v1, s5, v0, 2
	s_delay_alu instid0(VALU_DEP_1) | instskip(NEXT) | instid1(VALU_DEP_1)
	v_lshlrev_b64 v[1:2], 2, v[1:2]
	v_add_co_u32 v1, vcc_lo, s0, v1
	s_delay_alu instid0(VALU_DEP_2)
	v_add_co_ci_u32_e32 v2, vcc_lo, s1, v2, vcc_lo
	v_cmp_eq_u32_e32 vcc_lo, 0, v8
	v_cmp_gt_u32_e64 s0, 32, v0
	v_lshl_or_b32 v8, v8, 2, 4
	global_load_b128 v[1:4], v[1:2], off
	s_movk_i32 s1, 0x64
	s_set_inst_prefetch_distance 0x1
	s_branch .LBB10_2
	.p2align	6
.LBB10_1:                               ;   in Loop: Header=BB10_2 Depth=1
	s_or_b32 exec_lo, exec_lo, s5
	s_add_i32 s1, s1, -1
	s_delay_alu instid0(SALU_CYCLE_1)
	s_cmp_eq_u32 s1, 0
	s_cbranch_scc1 .LBB10_6
.LBB10_2:                               ; =>This Inner Loop Header: Depth=1
	s_waitcnt vmcnt(0)
	v_add_f32_e32 v1, v1, v2
	s_delay_alu instid0(VALU_DEP_1) | instskip(NEXT) | instid1(VALU_DEP_1)
	v_add_f32_e32 v1, v3, v1
	v_add_f32_e32 v1, v4, v1
	s_delay_alu instid0(VALU_DEP_1) | instskip(NEXT) | instid1(VALU_DEP_1)
	v_mov_b32_dpp v9, v1 quad_perm:[1,0,3,2] row_mask:0xf bank_mask:0xf
	v_add_f32_e32 v1, v1, v9
	s_delay_alu instid0(VALU_DEP_1) | instskip(NEXT) | instid1(VALU_DEP_1)
	v_mov_b32_dpp v9, v1 quad_perm:[2,3,0,1] row_mask:0xf bank_mask:0xf
	v_add_f32_e32 v1, v1, v9
	s_delay_alu instid0(VALU_DEP_1) | instskip(NEXT) | instid1(VALU_DEP_1)
	v_mov_b32_dpp v9, v1 row_ror:4 row_mask:0xf bank_mask:0xf
	v_add_f32_e32 v1, v1, v9
	s_delay_alu instid0(VALU_DEP_1) | instskip(NEXT) | instid1(VALU_DEP_1)
	v_mov_b32_dpp v9, v1 row_ror:8 row_mask:0xf bank_mask:0xf
	v_add_f32_e32 v1, v1, v9
	ds_swizzle_b32 v9, v1 offset:swizzle(BROADCAST,32,15)
	s_waitcnt lgkmcnt(0)
	v_add_f32_e32 v1, v1, v9
	ds_bpermute_b32 v1, v5, v1
	s_and_saveexec_b32 s5, vcc_lo
	s_cbranch_execz .LBB10_4
; %bb.3:                                ;   in Loop: Header=BB10_2 Depth=1
	s_waitcnt lgkmcnt(0)
	ds_store_b32 v6, v1
.LBB10_4:                               ;   in Loop: Header=BB10_2 Depth=1
	s_or_b32 exec_lo, exec_lo, s5
	s_waitcnt lgkmcnt(0)
	s_barrier
	buffer_gl0_inv
	s_and_saveexec_b32 s5, s0
	s_cbranch_execz .LBB10_1
; %bb.5:                                ;   in Loop: Header=BB10_2 Depth=1
	ds_load_b32 v1, v7
	s_waitcnt lgkmcnt(0)
	ds_bpermute_b32 v9, v8, v1
	s_waitcnt lgkmcnt(0)
	v_add_f32_e32 v1, v1, v9
	s_branch .LBB10_1
.LBB10_6:
	s_set_inst_prefetch_distance 0x2
	s_mov_b32 s5, 0
	s_mov_b32 s0, exec_lo
	v_cmpx_eq_u32_e32 0, v0
	s_cbranch_execz .LBB10_8
; %bb.7:
	s_lshl_b64 s[0:1], s[4:5], 2
	v_mov_b32_e32 v0, 0
	s_add_u32 s0, s2, s0
	s_addc_u32 s1, s3, s1
	global_store_b32 v0, v1, s[0:1]
.LBB10_8:
	s_nop 0
	s_sendmsg sendmsg(MSG_DEALLOC_VGPRS)
	s_endpgm
	.section	.rodata,"a",@progbits
	.p2align	6, 0x0
	.amdhsa_kernel _Z6kernelI6reduceILN6hipcub20BlockReduceAlgorithmE0EEfLj64ELj4ELj100EEvPKT0_PS4_
		.amdhsa_group_segment_fixed_size 8
		.amdhsa_private_segment_fixed_size 0
		.amdhsa_kernarg_size 272
		.amdhsa_user_sgpr_count 15
		.amdhsa_user_sgpr_dispatch_ptr 0
		.amdhsa_user_sgpr_queue_ptr 0
		.amdhsa_user_sgpr_kernarg_segment_ptr 1
		.amdhsa_user_sgpr_dispatch_id 0
		.amdhsa_user_sgpr_private_segment_size 0
		.amdhsa_wavefront_size32 1
		.amdhsa_uses_dynamic_stack 0
		.amdhsa_enable_private_segment 0
		.amdhsa_system_sgpr_workgroup_id_x 1
		.amdhsa_system_sgpr_workgroup_id_y 0
		.amdhsa_system_sgpr_workgroup_id_z 0
		.amdhsa_system_sgpr_workgroup_info 0
		.amdhsa_system_vgpr_workitem_id 0
		.amdhsa_next_free_vgpr 10
		.amdhsa_next_free_sgpr 16
		.amdhsa_reserve_vcc 1
		.amdhsa_float_round_mode_32 0
		.amdhsa_float_round_mode_16_64 0
		.amdhsa_float_denorm_mode_32 3
		.amdhsa_float_denorm_mode_16_64 3
		.amdhsa_dx10_clamp 1
		.amdhsa_ieee_mode 1
		.amdhsa_fp16_overflow 0
		.amdhsa_workgroup_processor_mode 1
		.amdhsa_memory_ordered 1
		.amdhsa_forward_progress 0
		.amdhsa_shared_vgpr_count 0
		.amdhsa_exception_fp_ieee_invalid_op 0
		.amdhsa_exception_fp_denorm_src 0
		.amdhsa_exception_fp_ieee_div_zero 0
		.amdhsa_exception_fp_ieee_overflow 0
		.amdhsa_exception_fp_ieee_underflow 0
		.amdhsa_exception_fp_ieee_inexact 0
		.amdhsa_exception_int_div_zero 0
	.end_amdhsa_kernel
	.section	.text._Z6kernelI6reduceILN6hipcub20BlockReduceAlgorithmE0EEfLj64ELj4ELj100EEvPKT0_PS4_,"axG",@progbits,_Z6kernelI6reduceILN6hipcub20BlockReduceAlgorithmE0EEfLj64ELj4ELj100EEvPKT0_PS4_,comdat
.Lfunc_end10:
	.size	_Z6kernelI6reduceILN6hipcub20BlockReduceAlgorithmE0EEfLj64ELj4ELj100EEvPKT0_PS4_, .Lfunc_end10-_Z6kernelI6reduceILN6hipcub20BlockReduceAlgorithmE0EEfLj64ELj4ELj100EEvPKT0_PS4_
                                        ; -- End function
	.section	.AMDGPU.csdata,"",@progbits
; Kernel info:
; codeLenInByte = 424
; NumSgprs: 18
; NumVgprs: 10
; ScratchSize: 0
; MemoryBound: 0
; FloatMode: 240
; IeeeMode: 1
; LDSByteSize: 8 bytes/workgroup (compile time only)
; SGPRBlocks: 2
; VGPRBlocks: 1
; NumSGPRsForWavesPerEU: 18
; NumVGPRsForWavesPerEU: 10
; Occupancy: 16
; WaveLimiterHint : 0
; COMPUTE_PGM_RSRC2:SCRATCH_EN: 0
; COMPUTE_PGM_RSRC2:USER_SGPR: 15
; COMPUTE_PGM_RSRC2:TRAP_HANDLER: 0
; COMPUTE_PGM_RSRC2:TGID_X_EN: 1
; COMPUTE_PGM_RSRC2:TGID_Y_EN: 0
; COMPUTE_PGM_RSRC2:TGID_Z_EN: 0
; COMPUTE_PGM_RSRC2:TIDIG_COMP_CNT: 0
	.section	.text._Z6kernelI6reduceILN6hipcub20BlockReduceAlgorithmE0EEfLj64ELj8ELj100EEvPKT0_PS4_,"axG",@progbits,_Z6kernelI6reduceILN6hipcub20BlockReduceAlgorithmE0EEfLj64ELj8ELj100EEvPKT0_PS4_,comdat
	.protected	_Z6kernelI6reduceILN6hipcub20BlockReduceAlgorithmE0EEfLj64ELj8ELj100EEvPKT0_PS4_ ; -- Begin function _Z6kernelI6reduceILN6hipcub20BlockReduceAlgorithmE0EEfLj64ELj8ELj100EEvPKT0_PS4_
	.globl	_Z6kernelI6reduceILN6hipcub20BlockReduceAlgorithmE0EEfLj64ELj8ELj100EEvPKT0_PS4_
	.p2align	8
	.type	_Z6kernelI6reduceILN6hipcub20BlockReduceAlgorithmE0EEfLj64ELj8ELj100EEvPKT0_PS4_,@function
_Z6kernelI6reduceILN6hipcub20BlockReduceAlgorithmE0EEfLj64ELj8ELj100EEvPKT0_PS4_: ; @_Z6kernelI6reduceILN6hipcub20BlockReduceAlgorithmE0EEfLj64ELj8ELj100EEvPKT0_PS4_
; %bb.0:
	s_clause 0x1
	s_load_b32 s5, s[0:1], 0x1c
	s_load_b128 s[0:3], s[0:1], 0x0
	v_mbcnt_lo_u32_b32 v12, -1, 0
	v_mov_b32_e32 v2, 0
	v_lshrrev_b32_e32 v10, 3, v0
	v_mov_b32_e32 v9, 0x7c
	s_mov_b32 s4, s15
	v_and_b32_e32 v11, 1, v12
	s_delay_alu instid0(VALU_DEP_3) | instskip(NEXT) | instid1(VALU_DEP_2)
	v_and_b32_e32 v10, 4, v10
	v_lshlrev_b32_e32 v11, 2, v11
	s_waitcnt lgkmcnt(0)
	s_and_b32 s5, s5, 0xffff
	s_delay_alu instid0(SALU_CYCLE_1) | instskip(NEXT) | instid1(SALU_CYCLE_1)
	s_mul_i32 s5, s15, s5
	v_add_lshl_u32 v1, s5, v0, 3
	s_delay_alu instid0(VALU_DEP_1) | instskip(NEXT) | instid1(VALU_DEP_1)
	v_lshlrev_b64 v[1:2], 2, v[1:2]
	v_add_co_u32 v5, vcc_lo, s0, v1
	s_delay_alu instid0(VALU_DEP_2)
	v_add_co_ci_u32_e32 v6, vcc_lo, s1, v2, vcc_lo
	v_cmp_eq_u32_e32 vcc_lo, 0, v12
	v_cmp_gt_u32_e64 s0, 32, v0
	v_lshl_or_b32 v12, v12, 2, 4
	s_clause 0x1
	global_load_b128 v[1:4], v[5:6], off
	global_load_b128 v[5:8], v[5:6], off offset:16
	s_movk_i32 s1, 0x64
	s_set_inst_prefetch_distance 0x1
	s_branch .LBB11_2
	.p2align	6
.LBB11_1:                               ;   in Loop: Header=BB11_2 Depth=1
	s_or_b32 exec_lo, exec_lo, s5
	s_add_i32 s1, s1, -1
	s_delay_alu instid0(SALU_CYCLE_1)
	s_cmp_eq_u32 s1, 0
	s_cbranch_scc1 .LBB11_6
.LBB11_2:                               ; =>This Inner Loop Header: Depth=1
	s_waitcnt vmcnt(1)
	v_add_f32_e32 v1, v1, v2
	s_delay_alu instid0(VALU_DEP_1) | instskip(NEXT) | instid1(VALU_DEP_1)
	v_add_f32_e32 v1, v3, v1
	v_add_f32_e32 v1, v4, v1
	s_waitcnt vmcnt(0)
	s_delay_alu instid0(VALU_DEP_1) | instskip(NEXT) | instid1(VALU_DEP_1)
	v_add_f32_e32 v1, v5, v1
	v_add_f32_e32 v1, v6, v1
	s_delay_alu instid0(VALU_DEP_1) | instskip(NEXT) | instid1(VALU_DEP_1)
	v_add_f32_e32 v1, v7, v1
	v_add_f32_e32 v1, v8, v1
	s_delay_alu instid0(VALU_DEP_1) | instskip(NEXT) | instid1(VALU_DEP_1)
	v_mov_b32_dpp v13, v1 quad_perm:[1,0,3,2] row_mask:0xf bank_mask:0xf
	v_add_f32_e32 v1, v1, v13
	s_delay_alu instid0(VALU_DEP_1) | instskip(NEXT) | instid1(VALU_DEP_1)
	v_mov_b32_dpp v13, v1 quad_perm:[2,3,0,1] row_mask:0xf bank_mask:0xf
	v_add_f32_e32 v1, v1, v13
	s_delay_alu instid0(VALU_DEP_1) | instskip(NEXT) | instid1(VALU_DEP_1)
	v_mov_b32_dpp v13, v1 row_ror:4 row_mask:0xf bank_mask:0xf
	v_add_f32_e32 v1, v1, v13
	s_delay_alu instid0(VALU_DEP_1) | instskip(NEXT) | instid1(VALU_DEP_1)
	v_mov_b32_dpp v13, v1 row_ror:8 row_mask:0xf bank_mask:0xf
	v_add_f32_e32 v1, v1, v13
	ds_swizzle_b32 v13, v1 offset:swizzle(BROADCAST,32,15)
	s_waitcnt lgkmcnt(0)
	v_add_f32_e32 v1, v1, v13
	ds_bpermute_b32 v1, v9, v1
	s_and_saveexec_b32 s5, vcc_lo
	s_cbranch_execz .LBB11_4
; %bb.3:                                ;   in Loop: Header=BB11_2 Depth=1
	s_waitcnt lgkmcnt(0)
	ds_store_b32 v10, v1
.LBB11_4:                               ;   in Loop: Header=BB11_2 Depth=1
	s_or_b32 exec_lo, exec_lo, s5
	s_waitcnt lgkmcnt(0)
	s_barrier
	buffer_gl0_inv
	s_and_saveexec_b32 s5, s0
	s_cbranch_execz .LBB11_1
; %bb.5:                                ;   in Loop: Header=BB11_2 Depth=1
	ds_load_b32 v1, v11
	s_waitcnt lgkmcnt(0)
	ds_bpermute_b32 v13, v12, v1
	s_waitcnt lgkmcnt(0)
	v_add_f32_e32 v1, v1, v13
	s_branch .LBB11_1
.LBB11_6:
	s_set_inst_prefetch_distance 0x2
	s_mov_b32 s5, 0
	s_mov_b32 s0, exec_lo
	v_cmpx_eq_u32_e32 0, v0
	s_cbranch_execz .LBB11_8
; %bb.7:
	s_lshl_b64 s[0:1], s[4:5], 2
	v_mov_b32_e32 v0, 0
	s_add_u32 s0, s2, s0
	s_addc_u32 s1, s3, s1
	global_store_b32 v0, v1, s[0:1]
.LBB11_8:
	s_nop 0
	s_sendmsg sendmsg(MSG_DEALLOC_VGPRS)
	s_endpgm
	.section	.rodata,"a",@progbits
	.p2align	6, 0x0
	.amdhsa_kernel _Z6kernelI6reduceILN6hipcub20BlockReduceAlgorithmE0EEfLj64ELj8ELj100EEvPKT0_PS4_
		.amdhsa_group_segment_fixed_size 8
		.amdhsa_private_segment_fixed_size 0
		.amdhsa_kernarg_size 272
		.amdhsa_user_sgpr_count 15
		.amdhsa_user_sgpr_dispatch_ptr 0
		.amdhsa_user_sgpr_queue_ptr 0
		.amdhsa_user_sgpr_kernarg_segment_ptr 1
		.amdhsa_user_sgpr_dispatch_id 0
		.amdhsa_user_sgpr_private_segment_size 0
		.amdhsa_wavefront_size32 1
		.amdhsa_uses_dynamic_stack 0
		.amdhsa_enable_private_segment 0
		.amdhsa_system_sgpr_workgroup_id_x 1
		.amdhsa_system_sgpr_workgroup_id_y 0
		.amdhsa_system_sgpr_workgroup_id_z 0
		.amdhsa_system_sgpr_workgroup_info 0
		.amdhsa_system_vgpr_workitem_id 0
		.amdhsa_next_free_vgpr 14
		.amdhsa_next_free_sgpr 16
		.amdhsa_reserve_vcc 1
		.amdhsa_float_round_mode_32 0
		.amdhsa_float_round_mode_16_64 0
		.amdhsa_float_denorm_mode_32 3
		.amdhsa_float_denorm_mode_16_64 3
		.amdhsa_dx10_clamp 1
		.amdhsa_ieee_mode 1
		.amdhsa_fp16_overflow 0
		.amdhsa_workgroup_processor_mode 1
		.amdhsa_memory_ordered 1
		.amdhsa_forward_progress 0
		.amdhsa_shared_vgpr_count 0
		.amdhsa_exception_fp_ieee_invalid_op 0
		.amdhsa_exception_fp_denorm_src 0
		.amdhsa_exception_fp_ieee_div_zero 0
		.amdhsa_exception_fp_ieee_overflow 0
		.amdhsa_exception_fp_ieee_underflow 0
		.amdhsa_exception_fp_ieee_inexact 0
		.amdhsa_exception_int_div_zero 0
	.end_amdhsa_kernel
	.section	.text._Z6kernelI6reduceILN6hipcub20BlockReduceAlgorithmE0EEfLj64ELj8ELj100EEvPKT0_PS4_,"axG",@progbits,_Z6kernelI6reduceILN6hipcub20BlockReduceAlgorithmE0EEfLj64ELj8ELj100EEvPKT0_PS4_,comdat
.Lfunc_end11:
	.size	_Z6kernelI6reduceILN6hipcub20BlockReduceAlgorithmE0EEfLj64ELj8ELj100EEvPKT0_PS4_, .Lfunc_end11-_Z6kernelI6reduceILN6hipcub20BlockReduceAlgorithmE0EEfLj64ELj8ELj100EEvPKT0_PS4_
                                        ; -- End function
	.section	.AMDGPU.csdata,"",@progbits
; Kernel info:
; codeLenInByte = 464
; NumSgprs: 18
; NumVgprs: 14
; ScratchSize: 0
; MemoryBound: 0
; FloatMode: 240
; IeeeMode: 1
; LDSByteSize: 8 bytes/workgroup (compile time only)
; SGPRBlocks: 2
; VGPRBlocks: 1
; NumSGPRsForWavesPerEU: 18
; NumVGPRsForWavesPerEU: 14
; Occupancy: 16
; WaveLimiterHint : 0
; COMPUTE_PGM_RSRC2:SCRATCH_EN: 0
; COMPUTE_PGM_RSRC2:USER_SGPR: 15
; COMPUTE_PGM_RSRC2:TRAP_HANDLER: 0
; COMPUTE_PGM_RSRC2:TGID_X_EN: 1
; COMPUTE_PGM_RSRC2:TGID_Y_EN: 0
; COMPUTE_PGM_RSRC2:TGID_Z_EN: 0
; COMPUTE_PGM_RSRC2:TIDIG_COMP_CNT: 0
	.section	.text._Z6kernelI6reduceILN6hipcub20BlockReduceAlgorithmE0EEfLj64ELj11ELj100EEvPKT0_PS4_,"axG",@progbits,_Z6kernelI6reduceILN6hipcub20BlockReduceAlgorithmE0EEfLj64ELj11ELj100EEvPKT0_PS4_,comdat
	.protected	_Z6kernelI6reduceILN6hipcub20BlockReduceAlgorithmE0EEfLj64ELj11ELj100EEvPKT0_PS4_ ; -- Begin function _Z6kernelI6reduceILN6hipcub20BlockReduceAlgorithmE0EEfLj64ELj11ELj100EEvPKT0_PS4_
	.globl	_Z6kernelI6reduceILN6hipcub20BlockReduceAlgorithmE0EEfLj64ELj11ELj100EEvPKT0_PS4_
	.p2align	8
	.type	_Z6kernelI6reduceILN6hipcub20BlockReduceAlgorithmE0EEfLj64ELj11ELj100EEvPKT0_PS4_,@function
_Z6kernelI6reduceILN6hipcub20BlockReduceAlgorithmE0EEfLj64ELj11ELj100EEvPKT0_PS4_: ; @_Z6kernelI6reduceILN6hipcub20BlockReduceAlgorithmE0EEfLj64ELj11ELj100EEvPKT0_PS4_
; %bb.0:
	s_load_b32 s2, s[0:1], 0x1c
	s_mov_b32 s4, s15
	s_waitcnt lgkmcnt(0)
	s_and_b32 s2, s2, 0xffff
	s_delay_alu instid0(SALU_CYCLE_1) | instskip(SKIP_1) | instid1(VALU_DEP_1)
	v_mad_u64_u32 v[1:2], null, s4, s2, v[0:1]
	s_load_b128 s[0:3], s[0:1], 0x0
	v_mul_lo_u32 v1, v1, 11
	s_delay_alu instid0(VALU_DEP_1) | instskip(NEXT) | instid1(VALU_DEP_1)
	v_dual_mov_b32 v2, 0 :: v_dual_add_nc_u32 v3, 1, v1
	v_dual_mov_b32 v4, v2 :: v_dual_add_nc_u32 v5, 2, v1
	v_lshlrev_b64 v[17:18], 2, v[1:2]
	v_dual_mov_b32 v6, v2 :: v_dual_add_nc_u32 v7, 3, v1
	s_delay_alu instid0(VALU_DEP_3) | instskip(SKIP_1) | instid1(VALU_DEP_3)
	v_lshlrev_b64 v[3:4], 2, v[3:4]
	v_dual_mov_b32 v8, v2 :: v_dual_add_nc_u32 v9, 4, v1
	v_lshlrev_b64 v[5:6], 2, v[5:6]
	s_waitcnt lgkmcnt(0)
	v_add_co_u32 v17, vcc_lo, s0, v17
	v_dual_mov_b32 v10, v2 :: v_dual_add_nc_u32 v11, 5, v1
	v_add_co_ci_u32_e32 v18, vcc_lo, s1, v18, vcc_lo
	v_lshlrev_b64 v[7:8], 2, v[7:8]
	v_add_co_u32 v19, vcc_lo, s0, v3
	v_dual_mov_b32 v12, v2 :: v_dual_add_nc_u32 v13, 6, v1
	v_add_co_ci_u32_e32 v20, vcc_lo, s1, v4, vcc_lo
	v_lshlrev_b64 v[9:10], 2, v[9:10]
	;; [unrolled: 4-line block ×3, first 2 shown]
	v_add_co_u32 v7, vcc_lo, s0, v7
	v_mov_b32_e32 v16, v2
	v_add_co_ci_u32_e32 v8, vcc_lo, s1, v8, vcc_lo
	v_lshlrev_b64 v[13:14], 2, v[13:14]
	v_add_co_u32 v9, vcc_lo, s0, v9
	v_add_co_ci_u32_e32 v10, vcc_lo, s1, v10, vcc_lo
	v_add_co_u32 v11, vcc_lo, s0, v11
	v_lshlrev_b64 v[3:4], 2, v[15:16]
	v_add_nc_u32_e32 v15, 8, v1
	v_add_co_ci_u32_e32 v12, vcc_lo, s1, v12, vcc_lo
	v_add_co_u32 v13, vcc_lo, s0, v13
	v_dual_mov_b32 v22, v2 :: v_dual_add_nc_u32 v21, 9, v1
	v_add_co_ci_u32_e32 v14, vcc_lo, s1, v14, vcc_lo
	v_lshlrev_b64 v[15:16], 2, v[15:16]
	v_add_co_u32 v23, vcc_lo, s0, v3
	v_add_nc_u32_e32 v1, 10, v1
	v_add_co_ci_u32_e32 v24, vcc_lo, s1, v4, vcc_lo
	v_lshlrev_b64 v[3:4], 2, v[21:22]
	v_add_co_u32 v15, vcc_lo, s0, v15
	s_delay_alu instid0(VALU_DEP_4) | instskip(SKIP_1) | instid1(VALU_DEP_4)
	v_lshlrev_b64 v[1:2], 2, v[1:2]
	v_add_co_ci_u32_e32 v16, vcc_lo, s1, v16, vcc_lo
	v_add_co_u32 v21, vcc_lo, s0, v3
	v_add_co_ci_u32_e32 v22, vcc_lo, s1, v4, vcc_lo
	s_delay_alu instid0(VALU_DEP_4)
	v_add_co_u32 v25, vcc_lo, s0, v1
	v_add_co_ci_u32_e32 v26, vcc_lo, s1, v2, vcc_lo
	s_clause 0xa
	global_load_b32 v4, v[17:18], off
	global_load_b32 v1, v[19:20], off
	;; [unrolled: 1-line block ×11, first 2 shown]
	v_mov_b32_e32 v12, 0x7c
	v_mbcnt_lo_u32_b32 v15, -1, 0
	v_lshrrev_b32_e32 v13, 3, v0
	v_cmp_gt_u32_e64 s0, 32, v0
	s_movk_i32 s1, 0x64
	s_delay_alu instid0(VALU_DEP_3) | instskip(SKIP_3) | instid1(VALU_DEP_4)
	v_and_b32_e32 v14, 1, v15
	v_cmp_eq_u32_e32 vcc_lo, 0, v15
	v_and_b32_e32 v13, 4, v13
	v_lshl_or_b32 v15, v15, 2, 4
	v_lshlrev_b32_e32 v14, 2, v14
	s_set_inst_prefetch_distance 0x1
	s_branch .LBB12_2
	.p2align	6
.LBB12_1:                               ;   in Loop: Header=BB12_2 Depth=1
	s_or_b32 exec_lo, exec_lo, s5
	s_add_i32 s1, s1, -1
	s_delay_alu instid0(SALU_CYCLE_1)
	s_cmp_eq_u32 s1, 0
	s_cbranch_scc1 .LBB12_6
.LBB12_2:                               ; =>This Inner Loop Header: Depth=1
	s_waitcnt vmcnt(9)
	v_add_f32_e32 v4, v1, v4
	s_waitcnt vmcnt(8)
	s_delay_alu instid0(VALU_DEP_1) | instskip(SKIP_1) | instid1(VALU_DEP_1)
	v_add_f32_e32 v4, v2, v4
	s_waitcnt vmcnt(7)
	v_add_f32_e32 v4, v3, v4
	s_waitcnt vmcnt(6)
	s_delay_alu instid0(VALU_DEP_1) | instskip(SKIP_1) | instid1(VALU_DEP_1)
	v_add_f32_e32 v4, v5, v4
	;; [unrolled: 5-line block ×4, first 2 shown]
	s_waitcnt vmcnt(1)
	v_add_f32_e32 v4, v10, v4
	s_waitcnt vmcnt(0)
	s_delay_alu instid0(VALU_DEP_1) | instskip(NEXT) | instid1(VALU_DEP_1)
	v_add_f32_e32 v4, v11, v4
	v_mov_b32_dpp v16, v4 quad_perm:[1,0,3,2] row_mask:0xf bank_mask:0xf
	s_delay_alu instid0(VALU_DEP_1) | instskip(NEXT) | instid1(VALU_DEP_1)
	v_add_f32_e32 v4, v4, v16
	v_mov_b32_dpp v16, v4 quad_perm:[2,3,0,1] row_mask:0xf bank_mask:0xf
	s_delay_alu instid0(VALU_DEP_1) | instskip(NEXT) | instid1(VALU_DEP_1)
	v_add_f32_e32 v4, v4, v16
	v_mov_b32_dpp v16, v4 row_ror:4 row_mask:0xf bank_mask:0xf
	s_delay_alu instid0(VALU_DEP_1) | instskip(NEXT) | instid1(VALU_DEP_1)
	v_add_f32_e32 v4, v4, v16
	v_mov_b32_dpp v16, v4 row_ror:8 row_mask:0xf bank_mask:0xf
	s_delay_alu instid0(VALU_DEP_1)
	v_add_f32_e32 v4, v4, v16
	ds_swizzle_b32 v16, v4 offset:swizzle(BROADCAST,32,15)
	s_waitcnt lgkmcnt(0)
	v_add_f32_e32 v4, v4, v16
	ds_bpermute_b32 v4, v12, v4
	s_and_saveexec_b32 s5, vcc_lo
	s_cbranch_execz .LBB12_4
; %bb.3:                                ;   in Loop: Header=BB12_2 Depth=1
	s_waitcnt lgkmcnt(0)
	ds_store_b32 v13, v4
.LBB12_4:                               ;   in Loop: Header=BB12_2 Depth=1
	s_or_b32 exec_lo, exec_lo, s5
	s_waitcnt lgkmcnt(0)
	s_barrier
	buffer_gl0_inv
	s_and_saveexec_b32 s5, s0
	s_cbranch_execz .LBB12_1
; %bb.5:                                ;   in Loop: Header=BB12_2 Depth=1
	ds_load_b32 v4, v14
	s_waitcnt lgkmcnt(0)
	ds_bpermute_b32 v16, v15, v4
	s_waitcnt lgkmcnt(0)
	v_add_f32_e32 v4, v4, v16
	s_branch .LBB12_1
.LBB12_6:
	s_set_inst_prefetch_distance 0x2
	s_mov_b32 s5, 0
	s_mov_b32 s0, exec_lo
	v_cmpx_eq_u32_e32 0, v0
	s_cbranch_execz .LBB12_8
; %bb.7:
	s_lshl_b64 s[0:1], s[4:5], 2
	v_mov_b32_e32 v0, 0
	s_add_u32 s0, s2, s0
	s_addc_u32 s1, s3, s1
	global_store_b32 v0, v4, s[0:1]
.LBB12_8:
	s_nop 0
	s_sendmsg sendmsg(MSG_DEALLOC_VGPRS)
	s_endpgm
	.section	.rodata,"a",@progbits
	.p2align	6, 0x0
	.amdhsa_kernel _Z6kernelI6reduceILN6hipcub20BlockReduceAlgorithmE0EEfLj64ELj11ELj100EEvPKT0_PS4_
		.amdhsa_group_segment_fixed_size 8
		.amdhsa_private_segment_fixed_size 0
		.amdhsa_kernarg_size 272
		.amdhsa_user_sgpr_count 15
		.amdhsa_user_sgpr_dispatch_ptr 0
		.amdhsa_user_sgpr_queue_ptr 0
		.amdhsa_user_sgpr_kernarg_segment_ptr 1
		.amdhsa_user_sgpr_dispatch_id 0
		.amdhsa_user_sgpr_private_segment_size 0
		.amdhsa_wavefront_size32 1
		.amdhsa_uses_dynamic_stack 0
		.amdhsa_enable_private_segment 0
		.amdhsa_system_sgpr_workgroup_id_x 1
		.amdhsa_system_sgpr_workgroup_id_y 0
		.amdhsa_system_sgpr_workgroup_id_z 0
		.amdhsa_system_sgpr_workgroup_info 0
		.amdhsa_system_vgpr_workitem_id 0
		.amdhsa_next_free_vgpr 27
		.amdhsa_next_free_sgpr 16
		.amdhsa_reserve_vcc 1
		.amdhsa_float_round_mode_32 0
		.amdhsa_float_round_mode_16_64 0
		.amdhsa_float_denorm_mode_32 3
		.amdhsa_float_denorm_mode_16_64 3
		.amdhsa_dx10_clamp 1
		.amdhsa_ieee_mode 1
		.amdhsa_fp16_overflow 0
		.amdhsa_workgroup_processor_mode 1
		.amdhsa_memory_ordered 1
		.amdhsa_forward_progress 0
		.amdhsa_shared_vgpr_count 0
		.amdhsa_exception_fp_ieee_invalid_op 0
		.amdhsa_exception_fp_denorm_src 0
		.amdhsa_exception_fp_ieee_div_zero 0
		.amdhsa_exception_fp_ieee_overflow 0
		.amdhsa_exception_fp_ieee_underflow 0
		.amdhsa_exception_fp_ieee_inexact 0
		.amdhsa_exception_int_div_zero 0
	.end_amdhsa_kernel
	.section	.text._Z6kernelI6reduceILN6hipcub20BlockReduceAlgorithmE0EEfLj64ELj11ELj100EEvPKT0_PS4_,"axG",@progbits,_Z6kernelI6reduceILN6hipcub20BlockReduceAlgorithmE0EEfLj64ELj11ELj100EEvPKT0_PS4_,comdat
.Lfunc_end12:
	.size	_Z6kernelI6reduceILN6hipcub20BlockReduceAlgorithmE0EEfLj64ELj11ELj100EEvPKT0_PS4_, .Lfunc_end12-_Z6kernelI6reduceILN6hipcub20BlockReduceAlgorithmE0EEfLj64ELj11ELj100EEvPKT0_PS4_
                                        ; -- End function
	.section	.AMDGPU.csdata,"",@progbits
; Kernel info:
; codeLenInByte = 872
; NumSgprs: 18
; NumVgprs: 27
; ScratchSize: 0
; MemoryBound: 0
; FloatMode: 240
; IeeeMode: 1
; LDSByteSize: 8 bytes/workgroup (compile time only)
; SGPRBlocks: 2
; VGPRBlocks: 3
; NumSGPRsForWavesPerEU: 18
; NumVGPRsForWavesPerEU: 27
; Occupancy: 16
; WaveLimiterHint : 0
; COMPUTE_PGM_RSRC2:SCRATCH_EN: 0
; COMPUTE_PGM_RSRC2:USER_SGPR: 15
; COMPUTE_PGM_RSRC2:TRAP_HANDLER: 0
; COMPUTE_PGM_RSRC2:TGID_X_EN: 1
; COMPUTE_PGM_RSRC2:TGID_Y_EN: 0
; COMPUTE_PGM_RSRC2:TGID_Z_EN: 0
; COMPUTE_PGM_RSRC2:TIDIG_COMP_CNT: 0
	.section	.text._Z6kernelI6reduceILN6hipcub20BlockReduceAlgorithmE0EEfLj64ELj16ELj100EEvPKT0_PS4_,"axG",@progbits,_Z6kernelI6reduceILN6hipcub20BlockReduceAlgorithmE0EEfLj64ELj16ELj100EEvPKT0_PS4_,comdat
	.protected	_Z6kernelI6reduceILN6hipcub20BlockReduceAlgorithmE0EEfLj64ELj16ELj100EEvPKT0_PS4_ ; -- Begin function _Z6kernelI6reduceILN6hipcub20BlockReduceAlgorithmE0EEfLj64ELj16ELj100EEvPKT0_PS4_
	.globl	_Z6kernelI6reduceILN6hipcub20BlockReduceAlgorithmE0EEfLj64ELj16ELj100EEvPKT0_PS4_
	.p2align	8
	.type	_Z6kernelI6reduceILN6hipcub20BlockReduceAlgorithmE0EEfLj64ELj16ELj100EEvPKT0_PS4_,@function
_Z6kernelI6reduceILN6hipcub20BlockReduceAlgorithmE0EEfLj64ELj16ELj100EEvPKT0_PS4_: ; @_Z6kernelI6reduceILN6hipcub20BlockReduceAlgorithmE0EEfLj64ELj16ELj100EEvPKT0_PS4_
; %bb.0:
	s_clause 0x1
	s_load_b32 s5, s[0:1], 0x1c
	s_load_b128 s[0:3], s[0:1], 0x0
	v_mbcnt_lo_u32_b32 v20, -1, 0
	v_mov_b32_e32 v2, 0
	v_lshrrev_b32_e32 v18, 3, v0
	v_mov_b32_e32 v17, 0x7c
	s_mov_b32 s4, s15
	v_and_b32_e32 v19, 1, v20
	s_delay_alu instid0(VALU_DEP_3) | instskip(NEXT) | instid1(VALU_DEP_2)
	v_and_b32_e32 v18, 4, v18
	v_lshlrev_b32_e32 v19, 2, v19
	s_waitcnt lgkmcnt(0)
	s_and_b32 s5, s5, 0xffff
	s_delay_alu instid0(SALU_CYCLE_1) | instskip(NEXT) | instid1(SALU_CYCLE_1)
	s_mul_i32 s5, s15, s5
	v_add_lshl_u32 v1, s5, v0, 4
	s_delay_alu instid0(VALU_DEP_1) | instskip(NEXT) | instid1(VALU_DEP_1)
	v_lshlrev_b64 v[1:2], 2, v[1:2]
	v_add_co_u32 v13, vcc_lo, s0, v1
	s_delay_alu instid0(VALU_DEP_2)
	v_add_co_ci_u32_e32 v14, vcc_lo, s1, v2, vcc_lo
	v_cmp_eq_u32_e32 vcc_lo, 0, v20
	v_cmp_gt_u32_e64 s0, 32, v0
	v_lshl_or_b32 v20, v20, 2, 4
	s_clause 0x3
	global_load_b128 v[1:4], v[13:14], off
	global_load_b128 v[5:8], v[13:14], off offset:16
	global_load_b128 v[9:12], v[13:14], off offset:32
	;; [unrolled: 1-line block ×3, first 2 shown]
	s_movk_i32 s1, 0x64
	s_branch .LBB13_2
.LBB13_1:                               ;   in Loop: Header=BB13_2 Depth=1
	s_or_b32 exec_lo, exec_lo, s5
	s_add_i32 s1, s1, -1
	s_delay_alu instid0(SALU_CYCLE_1)
	s_cmp_eq_u32 s1, 0
	s_cbranch_scc1 .LBB13_6
.LBB13_2:                               ; =>This Inner Loop Header: Depth=1
	s_waitcnt vmcnt(3)
	v_add_f32_e32 v1, v2, v1
	s_delay_alu instid0(VALU_DEP_1) | instskip(NEXT) | instid1(VALU_DEP_1)
	v_add_f32_e32 v1, v3, v1
	v_add_f32_e32 v1, v4, v1
	s_waitcnt vmcnt(2)
	s_delay_alu instid0(VALU_DEP_1) | instskip(NEXT) | instid1(VALU_DEP_1)
	v_add_f32_e32 v1, v5, v1
	v_add_f32_e32 v1, v6, v1
	s_delay_alu instid0(VALU_DEP_1) | instskip(NEXT) | instid1(VALU_DEP_1)
	v_add_f32_e32 v1, v7, v1
	v_add_f32_e32 v1, v8, v1
	s_waitcnt vmcnt(1)
	s_delay_alu instid0(VALU_DEP_1) | instskip(NEXT) | instid1(VALU_DEP_1)
	v_add_f32_e32 v1, v9, v1
	;; [unrolled: 7-line block ×3, first 2 shown]
	v_add_f32_e32 v1, v14, v1
	s_delay_alu instid0(VALU_DEP_1) | instskip(NEXT) | instid1(VALU_DEP_1)
	v_add_f32_e32 v1, v15, v1
	v_add_f32_e32 v1, v16, v1
	s_delay_alu instid0(VALU_DEP_1) | instskip(NEXT) | instid1(VALU_DEP_1)
	v_mov_b32_dpp v21, v1 quad_perm:[1,0,3,2] row_mask:0xf bank_mask:0xf
	v_add_f32_e32 v1, v1, v21
	s_delay_alu instid0(VALU_DEP_1) | instskip(NEXT) | instid1(VALU_DEP_1)
	v_mov_b32_dpp v21, v1 quad_perm:[2,3,0,1] row_mask:0xf bank_mask:0xf
	v_add_f32_e32 v1, v1, v21
	s_delay_alu instid0(VALU_DEP_1) | instskip(NEXT) | instid1(VALU_DEP_1)
	v_mov_b32_dpp v21, v1 row_ror:4 row_mask:0xf bank_mask:0xf
	v_add_f32_e32 v1, v1, v21
	s_delay_alu instid0(VALU_DEP_1) | instskip(NEXT) | instid1(VALU_DEP_1)
	v_mov_b32_dpp v21, v1 row_ror:8 row_mask:0xf bank_mask:0xf
	v_add_f32_e32 v1, v1, v21
	ds_swizzle_b32 v21, v1 offset:swizzle(BROADCAST,32,15)
	s_waitcnt lgkmcnt(0)
	v_add_f32_e32 v1, v1, v21
	ds_bpermute_b32 v1, v17, v1
	s_and_saveexec_b32 s5, vcc_lo
	s_cbranch_execz .LBB13_4
; %bb.3:                                ;   in Loop: Header=BB13_2 Depth=1
	s_waitcnt lgkmcnt(0)
	ds_store_b32 v18, v1
.LBB13_4:                               ;   in Loop: Header=BB13_2 Depth=1
	s_or_b32 exec_lo, exec_lo, s5
	s_waitcnt lgkmcnt(0)
	s_barrier
	buffer_gl0_inv
	s_and_saveexec_b32 s5, s0
	s_cbranch_execz .LBB13_1
; %bb.5:                                ;   in Loop: Header=BB13_2 Depth=1
	ds_load_b32 v1, v19
	s_waitcnt lgkmcnt(0)
	ds_bpermute_b32 v21, v20, v1
	s_waitcnt lgkmcnt(0)
	v_add_f32_e32 v1, v1, v21
	s_branch .LBB13_1
.LBB13_6:
	s_mov_b32 s5, 0
	s_mov_b32 s0, exec_lo
	v_cmpx_eq_u32_e32 0, v0
	s_cbranch_execz .LBB13_8
; %bb.7:
	s_lshl_b64 s[0:1], s[4:5], 2
	v_mov_b32_e32 v0, 0
	s_add_u32 s0, s2, s0
	s_addc_u32 s1, s3, s1
	global_store_b32 v0, v1, s[0:1]
.LBB13_8:
	s_nop 0
	s_sendmsg sendmsg(MSG_DEALLOC_VGPRS)
	s_endpgm
	.section	.rodata,"a",@progbits
	.p2align	6, 0x0
	.amdhsa_kernel _Z6kernelI6reduceILN6hipcub20BlockReduceAlgorithmE0EEfLj64ELj16ELj100EEvPKT0_PS4_
		.amdhsa_group_segment_fixed_size 8
		.amdhsa_private_segment_fixed_size 0
		.amdhsa_kernarg_size 272
		.amdhsa_user_sgpr_count 15
		.amdhsa_user_sgpr_dispatch_ptr 0
		.amdhsa_user_sgpr_queue_ptr 0
		.amdhsa_user_sgpr_kernarg_segment_ptr 1
		.amdhsa_user_sgpr_dispatch_id 0
		.amdhsa_user_sgpr_private_segment_size 0
		.amdhsa_wavefront_size32 1
		.amdhsa_uses_dynamic_stack 0
		.amdhsa_enable_private_segment 0
		.amdhsa_system_sgpr_workgroup_id_x 1
		.amdhsa_system_sgpr_workgroup_id_y 0
		.amdhsa_system_sgpr_workgroup_id_z 0
		.amdhsa_system_sgpr_workgroup_info 0
		.amdhsa_system_vgpr_workitem_id 0
		.amdhsa_next_free_vgpr 22
		.amdhsa_next_free_sgpr 16
		.amdhsa_reserve_vcc 1
		.amdhsa_float_round_mode_32 0
		.amdhsa_float_round_mode_16_64 0
		.amdhsa_float_denorm_mode_32 3
		.amdhsa_float_denorm_mode_16_64 3
		.amdhsa_dx10_clamp 1
		.amdhsa_ieee_mode 1
		.amdhsa_fp16_overflow 0
		.amdhsa_workgroup_processor_mode 1
		.amdhsa_memory_ordered 1
		.amdhsa_forward_progress 0
		.amdhsa_shared_vgpr_count 0
		.amdhsa_exception_fp_ieee_invalid_op 0
		.amdhsa_exception_fp_denorm_src 0
		.amdhsa_exception_fp_ieee_div_zero 0
		.amdhsa_exception_fp_ieee_overflow 0
		.amdhsa_exception_fp_ieee_underflow 0
		.amdhsa_exception_fp_ieee_inexact 0
		.amdhsa_exception_int_div_zero 0
	.end_amdhsa_kernel
	.section	.text._Z6kernelI6reduceILN6hipcub20BlockReduceAlgorithmE0EEfLj64ELj16ELj100EEvPKT0_PS4_,"axG",@progbits,_Z6kernelI6reduceILN6hipcub20BlockReduceAlgorithmE0EEfLj64ELj16ELj100EEvPKT0_PS4_,comdat
.Lfunc_end13:
	.size	_Z6kernelI6reduceILN6hipcub20BlockReduceAlgorithmE0EEfLj64ELj16ELj100EEvPKT0_PS4_, .Lfunc_end13-_Z6kernelI6reduceILN6hipcub20BlockReduceAlgorithmE0EEfLj64ELj16ELj100EEvPKT0_PS4_
                                        ; -- End function
	.section	.AMDGPU.csdata,"",@progbits
; Kernel info:
; codeLenInByte = 528
; NumSgprs: 18
; NumVgprs: 22
; ScratchSize: 0
; MemoryBound: 0
; FloatMode: 240
; IeeeMode: 1
; LDSByteSize: 8 bytes/workgroup (compile time only)
; SGPRBlocks: 2
; VGPRBlocks: 2
; NumSGPRsForWavesPerEU: 18
; NumVGPRsForWavesPerEU: 22
; Occupancy: 16
; WaveLimiterHint : 0
; COMPUTE_PGM_RSRC2:SCRATCH_EN: 0
; COMPUTE_PGM_RSRC2:USER_SGPR: 15
; COMPUTE_PGM_RSRC2:TRAP_HANDLER: 0
; COMPUTE_PGM_RSRC2:TGID_X_EN: 1
; COMPUTE_PGM_RSRC2:TGID_Y_EN: 0
; COMPUTE_PGM_RSRC2:TGID_Z_EN: 0
; COMPUTE_PGM_RSRC2:TIDIG_COMP_CNT: 0
	.section	.text._Z6kernelI6reduceILN6hipcub20BlockReduceAlgorithmE0EEdLj64ELj1ELj100EEvPKT0_PS4_,"axG",@progbits,_Z6kernelI6reduceILN6hipcub20BlockReduceAlgorithmE0EEdLj64ELj1ELj100EEvPKT0_PS4_,comdat
	.protected	_Z6kernelI6reduceILN6hipcub20BlockReduceAlgorithmE0EEdLj64ELj1ELj100EEvPKT0_PS4_ ; -- Begin function _Z6kernelI6reduceILN6hipcub20BlockReduceAlgorithmE0EEdLj64ELj1ELj100EEvPKT0_PS4_
	.globl	_Z6kernelI6reduceILN6hipcub20BlockReduceAlgorithmE0EEdLj64ELj1ELj100EEvPKT0_PS4_
	.p2align	8
	.type	_Z6kernelI6reduceILN6hipcub20BlockReduceAlgorithmE0EEdLj64ELj1ELj100EEvPKT0_PS4_,@function
_Z6kernelI6reduceILN6hipcub20BlockReduceAlgorithmE0EEdLj64ELj1ELj100EEvPKT0_PS4_: ; @_Z6kernelI6reduceILN6hipcub20BlockReduceAlgorithmE0EEdLj64ELj1ELj100EEvPKT0_PS4_
; %bb.0:
	s_clause 0x1
	s_load_b32 s5, s[0:1], 0x1c
	s_load_b128 s[0:3], s[0:1], 0x0
	s_mov_b32 s4, s15
	v_mbcnt_lo_u32_b32 v6, -1, 0
	v_lshrrev_b32_e32 v4, 2, v0
	v_mov_b32_e32 v3, 0x7c
	s_delay_alu instid0(VALU_DEP_3) | instskip(NEXT) | instid1(VALU_DEP_3)
	v_and_b32_e32 v5, 1, v6
	v_and_b32_e32 v4, 8, v4
	s_delay_alu instid0(VALU_DEP_2) | instskip(SKIP_2) | instid1(SALU_CYCLE_1)
	v_lshlrev_b32_e32 v5, 3, v5
	s_waitcnt lgkmcnt(0)
	s_and_b32 s5, s5, 0xffff
	v_mad_u64_u32 v[1:2], null, s4, s5, v[0:1]
	v_mov_b32_e32 v2, 0
	s_delay_alu instid0(VALU_DEP_1) | instskip(NEXT) | instid1(VALU_DEP_1)
	v_lshlrev_b64 v[1:2], 3, v[1:2]
	v_add_co_u32 v1, vcc_lo, s0, v1
	s_delay_alu instid0(VALU_DEP_2)
	v_add_co_ci_u32_e32 v2, vcc_lo, s1, v2, vcc_lo
	v_cmp_eq_u32_e32 vcc_lo, 0, v6
	v_cmp_gt_u32_e64 s0, 32, v0
	v_lshl_or_b32 v6, v6, 2, 4
	global_load_b64 v[1:2], v[1:2], off
	s_movk_i32 s1, 0x64
	s_branch .LBB14_2
.LBB14_1:                               ;   in Loop: Header=BB14_2 Depth=1
	s_or_b32 exec_lo, exec_lo, s5
	s_add_i32 s1, s1, -1
	s_delay_alu instid0(SALU_CYCLE_1)
	s_cmp_eq_u32 s1, 0
	s_cbranch_scc1 .LBB14_6
.LBB14_2:                               ; =>This Inner Loop Header: Depth=1
	s_waitcnt vmcnt(0)
	s_delay_alu instid0(VALU_DEP_1) | instskip(NEXT) | instid1(VALU_DEP_2)
	v_mov_b32_dpp v7, v1 quad_perm:[1,0,3,2] row_mask:0xf bank_mask:0xf
	v_mov_b32_dpp v8, v2 quad_perm:[1,0,3,2] row_mask:0xf bank_mask:0xf
	s_delay_alu instid0(VALU_DEP_1) | instskip(NEXT) | instid1(VALU_DEP_1)
	v_add_f64 v[1:2], v[1:2], v[7:8]
	v_mov_b32_dpp v7, v1 quad_perm:[2,3,0,1] row_mask:0xf bank_mask:0xf
	s_delay_alu instid0(VALU_DEP_2) | instskip(NEXT) | instid1(VALU_DEP_1)
	v_mov_b32_dpp v8, v2 quad_perm:[2,3,0,1] row_mask:0xf bank_mask:0xf
	v_add_f64 v[1:2], v[1:2], v[7:8]
	s_delay_alu instid0(VALU_DEP_1) | instskip(NEXT) | instid1(VALU_DEP_2)
	v_mov_b32_dpp v7, v1 row_ror:4 row_mask:0xf bank_mask:0xf
	v_mov_b32_dpp v8, v2 row_ror:4 row_mask:0xf bank_mask:0xf
	s_delay_alu instid0(VALU_DEP_1) | instskip(NEXT) | instid1(VALU_DEP_1)
	v_add_f64 v[1:2], v[1:2], v[7:8]
	v_mov_b32_dpp v7, v1 row_ror:8 row_mask:0xf bank_mask:0xf
	s_delay_alu instid0(VALU_DEP_2) | instskip(NEXT) | instid1(VALU_DEP_1)
	v_mov_b32_dpp v8, v2 row_ror:8 row_mask:0xf bank_mask:0xf
	v_add_f64 v[1:2], v[1:2], v[7:8]
	ds_swizzle_b32 v7, v1 offset:swizzle(BROADCAST,32,15)
	ds_swizzle_b32 v8, v2 offset:swizzle(BROADCAST,32,15)
	s_waitcnt lgkmcnt(0)
	v_add_f64 v[1:2], v[1:2], v[7:8]
	ds_bpermute_b32 v1, v3, v1
	ds_bpermute_b32 v2, v3, v2
	s_and_saveexec_b32 s5, vcc_lo
	s_cbranch_execz .LBB14_4
; %bb.3:                                ;   in Loop: Header=BB14_2 Depth=1
	s_waitcnt lgkmcnt(0)
	ds_store_b64 v4, v[1:2]
.LBB14_4:                               ;   in Loop: Header=BB14_2 Depth=1
	s_or_b32 exec_lo, exec_lo, s5
	s_waitcnt lgkmcnt(0)
	s_barrier
	buffer_gl0_inv
	s_and_saveexec_b32 s5, s0
	s_cbranch_execz .LBB14_1
; %bb.5:                                ;   in Loop: Header=BB14_2 Depth=1
	ds_load_b64 v[1:2], v5
	s_waitcnt lgkmcnt(0)
	ds_bpermute_b32 v7, v6, v1
	ds_bpermute_b32 v8, v6, v2
	s_waitcnt lgkmcnt(0)
	v_add_f64 v[1:2], v[1:2], v[7:8]
	s_branch .LBB14_1
.LBB14_6:
	s_mov_b32 s5, 0
	s_mov_b32 s0, exec_lo
	v_cmpx_eq_u32_e32 0, v0
	s_cbranch_execz .LBB14_8
; %bb.7:
	s_lshl_b64 s[0:1], s[4:5], 3
	v_mov_b32_e32 v0, 0
	s_add_u32 s0, s2, s0
	s_addc_u32 s1, s3, s1
	global_store_b64 v0, v[1:2], s[0:1]
.LBB14_8:
	s_nop 0
	s_sendmsg sendmsg(MSG_DEALLOC_VGPRS)
	s_endpgm
	.section	.rodata,"a",@progbits
	.p2align	6, 0x0
	.amdhsa_kernel _Z6kernelI6reduceILN6hipcub20BlockReduceAlgorithmE0EEdLj64ELj1ELj100EEvPKT0_PS4_
		.amdhsa_group_segment_fixed_size 16
		.amdhsa_private_segment_fixed_size 0
		.amdhsa_kernarg_size 272
		.amdhsa_user_sgpr_count 15
		.amdhsa_user_sgpr_dispatch_ptr 0
		.amdhsa_user_sgpr_queue_ptr 0
		.amdhsa_user_sgpr_kernarg_segment_ptr 1
		.amdhsa_user_sgpr_dispatch_id 0
		.amdhsa_user_sgpr_private_segment_size 0
		.amdhsa_wavefront_size32 1
		.amdhsa_uses_dynamic_stack 0
		.amdhsa_enable_private_segment 0
		.amdhsa_system_sgpr_workgroup_id_x 1
		.amdhsa_system_sgpr_workgroup_id_y 0
		.amdhsa_system_sgpr_workgroup_id_z 0
		.amdhsa_system_sgpr_workgroup_info 0
		.amdhsa_system_vgpr_workitem_id 0
		.amdhsa_next_free_vgpr 9
		.amdhsa_next_free_sgpr 16
		.amdhsa_reserve_vcc 1
		.amdhsa_float_round_mode_32 0
		.amdhsa_float_round_mode_16_64 0
		.amdhsa_float_denorm_mode_32 3
		.amdhsa_float_denorm_mode_16_64 3
		.amdhsa_dx10_clamp 1
		.amdhsa_ieee_mode 1
		.amdhsa_fp16_overflow 0
		.amdhsa_workgroup_processor_mode 1
		.amdhsa_memory_ordered 1
		.amdhsa_forward_progress 0
		.amdhsa_shared_vgpr_count 0
		.amdhsa_exception_fp_ieee_invalid_op 0
		.amdhsa_exception_fp_denorm_src 0
		.amdhsa_exception_fp_ieee_div_zero 0
		.amdhsa_exception_fp_ieee_overflow 0
		.amdhsa_exception_fp_ieee_underflow 0
		.amdhsa_exception_fp_ieee_inexact 0
		.amdhsa_exception_int_div_zero 0
	.end_amdhsa_kernel
	.section	.text._Z6kernelI6reduceILN6hipcub20BlockReduceAlgorithmE0EEdLj64ELj1ELj100EEvPKT0_PS4_,"axG",@progbits,_Z6kernelI6reduceILN6hipcub20BlockReduceAlgorithmE0EEdLj64ELj1ELj100EEvPKT0_PS4_,comdat
.Lfunc_end14:
	.size	_Z6kernelI6reduceILN6hipcub20BlockReduceAlgorithmE0EEdLj64ELj1ELj100EEvPKT0_PS4_, .Lfunc_end14-_Z6kernelI6reduceILN6hipcub20BlockReduceAlgorithmE0EEdLj64ELj1ELj100EEvPKT0_PS4_
                                        ; -- End function
	.section	.AMDGPU.csdata,"",@progbits
; Kernel info:
; codeLenInByte = 484
; NumSgprs: 18
; NumVgprs: 9
; ScratchSize: 0
; MemoryBound: 0
; FloatMode: 240
; IeeeMode: 1
; LDSByteSize: 16 bytes/workgroup (compile time only)
; SGPRBlocks: 2
; VGPRBlocks: 1
; NumSGPRsForWavesPerEU: 18
; NumVGPRsForWavesPerEU: 9
; Occupancy: 16
; WaveLimiterHint : 0
; COMPUTE_PGM_RSRC2:SCRATCH_EN: 0
; COMPUTE_PGM_RSRC2:USER_SGPR: 15
; COMPUTE_PGM_RSRC2:TRAP_HANDLER: 0
; COMPUTE_PGM_RSRC2:TGID_X_EN: 1
; COMPUTE_PGM_RSRC2:TGID_Y_EN: 0
; COMPUTE_PGM_RSRC2:TGID_Z_EN: 0
; COMPUTE_PGM_RSRC2:TIDIG_COMP_CNT: 0
	.section	.text._Z6kernelI6reduceILN6hipcub20BlockReduceAlgorithmE0EEdLj64ELj2ELj100EEvPKT0_PS4_,"axG",@progbits,_Z6kernelI6reduceILN6hipcub20BlockReduceAlgorithmE0EEdLj64ELj2ELj100EEvPKT0_PS4_,comdat
	.protected	_Z6kernelI6reduceILN6hipcub20BlockReduceAlgorithmE0EEdLj64ELj2ELj100EEvPKT0_PS4_ ; -- Begin function _Z6kernelI6reduceILN6hipcub20BlockReduceAlgorithmE0EEdLj64ELj2ELj100EEvPKT0_PS4_
	.globl	_Z6kernelI6reduceILN6hipcub20BlockReduceAlgorithmE0EEdLj64ELj2ELj100EEvPKT0_PS4_
	.p2align	8
	.type	_Z6kernelI6reduceILN6hipcub20BlockReduceAlgorithmE0EEdLj64ELj2ELj100EEvPKT0_PS4_,@function
_Z6kernelI6reduceILN6hipcub20BlockReduceAlgorithmE0EEdLj64ELj2ELj100EEvPKT0_PS4_: ; @_Z6kernelI6reduceILN6hipcub20BlockReduceAlgorithmE0EEdLj64ELj2ELj100EEvPKT0_PS4_
; %bb.0:
	s_clause 0x1
	s_load_b32 s5, s[0:1], 0x1c
	s_load_b128 s[0:3], s[0:1], 0x0
	v_mbcnt_lo_u32_b32 v8, -1, 0
	v_mov_b32_e32 v2, 0
	v_lshrrev_b32_e32 v6, 2, v0
	v_mov_b32_e32 v5, 0x7c
	s_mov_b32 s4, s15
	v_and_b32_e32 v7, 1, v8
	s_delay_alu instid0(VALU_DEP_3) | instskip(NEXT) | instid1(VALU_DEP_2)
	v_and_b32_e32 v6, 8, v6
	v_lshlrev_b32_e32 v7, 3, v7
	s_waitcnt lgkmcnt(0)
	s_and_b32 s5, s5, 0xffff
	s_delay_alu instid0(SALU_CYCLE_1) | instskip(NEXT) | instid1(SALU_CYCLE_1)
	s_mul_i32 s5, s15, s5
	v_add_lshl_u32 v1, s5, v0, 1
	s_delay_alu instid0(VALU_DEP_1) | instskip(NEXT) | instid1(VALU_DEP_1)
	v_lshlrev_b64 v[1:2], 3, v[1:2]
	v_add_co_u32 v1, vcc_lo, s0, v1
	s_delay_alu instid0(VALU_DEP_2)
	v_add_co_ci_u32_e32 v2, vcc_lo, s1, v2, vcc_lo
	v_cmp_eq_u32_e32 vcc_lo, 0, v8
	v_cmp_gt_u32_e64 s0, 32, v0
	v_lshl_or_b32 v8, v8, 2, 4
	global_load_b128 v[1:4], v[1:2], off
	s_movk_i32 s1, 0x64
	s_branch .LBB15_2
.LBB15_1:                               ;   in Loop: Header=BB15_2 Depth=1
	s_or_b32 exec_lo, exec_lo, s5
	s_add_i32 s1, s1, -1
	s_delay_alu instid0(SALU_CYCLE_1)
	s_cmp_eq_u32 s1, 0
	s_cbranch_scc1 .LBB15_6
.LBB15_2:                               ; =>This Inner Loop Header: Depth=1
	s_waitcnt vmcnt(0)
	s_delay_alu instid0(VALU_DEP_1) | instskip(NEXT) | instid1(VALU_DEP_1)
	v_add_f64 v[1:2], v[1:2], v[3:4]
	v_mov_b32_dpp v9, v1 quad_perm:[1,0,3,2] row_mask:0xf bank_mask:0xf
	s_delay_alu instid0(VALU_DEP_2) | instskip(NEXT) | instid1(VALU_DEP_1)
	v_mov_b32_dpp v10, v2 quad_perm:[1,0,3,2] row_mask:0xf bank_mask:0xf
	v_add_f64 v[1:2], v[1:2], v[9:10]
	s_delay_alu instid0(VALU_DEP_1) | instskip(NEXT) | instid1(VALU_DEP_2)
	v_mov_b32_dpp v9, v1 quad_perm:[2,3,0,1] row_mask:0xf bank_mask:0xf
	v_mov_b32_dpp v10, v2 quad_perm:[2,3,0,1] row_mask:0xf bank_mask:0xf
	s_delay_alu instid0(VALU_DEP_1) | instskip(NEXT) | instid1(VALU_DEP_1)
	v_add_f64 v[1:2], v[1:2], v[9:10]
	v_mov_b32_dpp v9, v1 row_ror:4 row_mask:0xf bank_mask:0xf
	s_delay_alu instid0(VALU_DEP_2) | instskip(NEXT) | instid1(VALU_DEP_1)
	v_mov_b32_dpp v10, v2 row_ror:4 row_mask:0xf bank_mask:0xf
	v_add_f64 v[1:2], v[1:2], v[9:10]
	s_delay_alu instid0(VALU_DEP_1) | instskip(NEXT) | instid1(VALU_DEP_2)
	v_mov_b32_dpp v9, v1 row_ror:8 row_mask:0xf bank_mask:0xf
	v_mov_b32_dpp v10, v2 row_ror:8 row_mask:0xf bank_mask:0xf
	s_delay_alu instid0(VALU_DEP_1)
	v_add_f64 v[1:2], v[1:2], v[9:10]
	ds_swizzle_b32 v9, v1 offset:swizzle(BROADCAST,32,15)
	ds_swizzle_b32 v10, v2 offset:swizzle(BROADCAST,32,15)
	s_waitcnt lgkmcnt(0)
	v_add_f64 v[1:2], v[1:2], v[9:10]
	ds_bpermute_b32 v1, v5, v1
	ds_bpermute_b32 v2, v5, v2
	s_and_saveexec_b32 s5, vcc_lo
	s_cbranch_execz .LBB15_4
; %bb.3:                                ;   in Loop: Header=BB15_2 Depth=1
	s_waitcnt lgkmcnt(0)
	ds_store_b64 v6, v[1:2]
.LBB15_4:                               ;   in Loop: Header=BB15_2 Depth=1
	s_or_b32 exec_lo, exec_lo, s5
	s_waitcnt lgkmcnt(0)
	s_barrier
	buffer_gl0_inv
	s_and_saveexec_b32 s5, s0
	s_cbranch_execz .LBB15_1
; %bb.5:                                ;   in Loop: Header=BB15_2 Depth=1
	ds_load_b64 v[1:2], v7
	s_waitcnt lgkmcnt(0)
	ds_bpermute_b32 v9, v8, v1
	ds_bpermute_b32 v10, v8, v2
	s_waitcnt lgkmcnt(0)
	v_add_f64 v[1:2], v[1:2], v[9:10]
	s_branch .LBB15_1
.LBB15_6:
	s_mov_b32 s5, 0
	s_mov_b32 s0, exec_lo
	v_cmpx_eq_u32_e32 0, v0
	s_cbranch_execz .LBB15_8
; %bb.7:
	s_lshl_b64 s[0:1], s[4:5], 3
	v_mov_b32_e32 v0, 0
	s_add_u32 s0, s2, s0
	s_addc_u32 s1, s3, s1
	global_store_b64 v0, v[1:2], s[0:1]
.LBB15_8:
	s_nop 0
	s_sendmsg sendmsg(MSG_DEALLOC_VGPRS)
	s_endpgm
	.section	.rodata,"a",@progbits
	.p2align	6, 0x0
	.amdhsa_kernel _Z6kernelI6reduceILN6hipcub20BlockReduceAlgorithmE0EEdLj64ELj2ELj100EEvPKT0_PS4_
		.amdhsa_group_segment_fixed_size 16
		.amdhsa_private_segment_fixed_size 0
		.amdhsa_kernarg_size 272
		.amdhsa_user_sgpr_count 15
		.amdhsa_user_sgpr_dispatch_ptr 0
		.amdhsa_user_sgpr_queue_ptr 0
		.amdhsa_user_sgpr_kernarg_segment_ptr 1
		.amdhsa_user_sgpr_dispatch_id 0
		.amdhsa_user_sgpr_private_segment_size 0
		.amdhsa_wavefront_size32 1
		.amdhsa_uses_dynamic_stack 0
		.amdhsa_enable_private_segment 0
		.amdhsa_system_sgpr_workgroup_id_x 1
		.amdhsa_system_sgpr_workgroup_id_y 0
		.amdhsa_system_sgpr_workgroup_id_z 0
		.amdhsa_system_sgpr_workgroup_info 0
		.amdhsa_system_vgpr_workitem_id 0
		.amdhsa_next_free_vgpr 11
		.amdhsa_next_free_sgpr 16
		.amdhsa_reserve_vcc 1
		.amdhsa_float_round_mode_32 0
		.amdhsa_float_round_mode_16_64 0
		.amdhsa_float_denorm_mode_32 3
		.amdhsa_float_denorm_mode_16_64 3
		.amdhsa_dx10_clamp 1
		.amdhsa_ieee_mode 1
		.amdhsa_fp16_overflow 0
		.amdhsa_workgroup_processor_mode 1
		.amdhsa_memory_ordered 1
		.amdhsa_forward_progress 0
		.amdhsa_shared_vgpr_count 0
		.amdhsa_exception_fp_ieee_invalid_op 0
		.amdhsa_exception_fp_denorm_src 0
		.amdhsa_exception_fp_ieee_div_zero 0
		.amdhsa_exception_fp_ieee_overflow 0
		.amdhsa_exception_fp_ieee_underflow 0
		.amdhsa_exception_fp_ieee_inexact 0
		.amdhsa_exception_int_div_zero 0
	.end_amdhsa_kernel
	.section	.text._Z6kernelI6reduceILN6hipcub20BlockReduceAlgorithmE0EEdLj64ELj2ELj100EEvPKT0_PS4_,"axG",@progbits,_Z6kernelI6reduceILN6hipcub20BlockReduceAlgorithmE0EEdLj64ELj2ELj100EEvPKT0_PS4_,comdat
.Lfunc_end15:
	.size	_Z6kernelI6reduceILN6hipcub20BlockReduceAlgorithmE0EEdLj64ELj2ELj100EEvPKT0_PS4_, .Lfunc_end15-_Z6kernelI6reduceILN6hipcub20BlockReduceAlgorithmE0EEdLj64ELj2ELj100EEvPKT0_PS4_
                                        ; -- End function
	.section	.AMDGPU.csdata,"",@progbits
; Kernel info:
; codeLenInByte = 500
; NumSgprs: 18
; NumVgprs: 11
; ScratchSize: 0
; MemoryBound: 0
; FloatMode: 240
; IeeeMode: 1
; LDSByteSize: 16 bytes/workgroup (compile time only)
; SGPRBlocks: 2
; VGPRBlocks: 1
; NumSGPRsForWavesPerEU: 18
; NumVGPRsForWavesPerEU: 11
; Occupancy: 16
; WaveLimiterHint : 0
; COMPUTE_PGM_RSRC2:SCRATCH_EN: 0
; COMPUTE_PGM_RSRC2:USER_SGPR: 15
; COMPUTE_PGM_RSRC2:TRAP_HANDLER: 0
; COMPUTE_PGM_RSRC2:TGID_X_EN: 1
; COMPUTE_PGM_RSRC2:TGID_Y_EN: 0
; COMPUTE_PGM_RSRC2:TGID_Z_EN: 0
; COMPUTE_PGM_RSRC2:TIDIG_COMP_CNT: 0
	.section	.text._Z6kernelI6reduceILN6hipcub20BlockReduceAlgorithmE0EEdLj64ELj3ELj100EEvPKT0_PS4_,"axG",@progbits,_Z6kernelI6reduceILN6hipcub20BlockReduceAlgorithmE0EEdLj64ELj3ELj100EEvPKT0_PS4_,comdat
	.protected	_Z6kernelI6reduceILN6hipcub20BlockReduceAlgorithmE0EEdLj64ELj3ELj100EEvPKT0_PS4_ ; -- Begin function _Z6kernelI6reduceILN6hipcub20BlockReduceAlgorithmE0EEdLj64ELj3ELj100EEvPKT0_PS4_
	.globl	_Z6kernelI6reduceILN6hipcub20BlockReduceAlgorithmE0EEdLj64ELj3ELj100EEvPKT0_PS4_
	.p2align	8
	.type	_Z6kernelI6reduceILN6hipcub20BlockReduceAlgorithmE0EEdLj64ELj3ELj100EEvPKT0_PS4_,@function
_Z6kernelI6reduceILN6hipcub20BlockReduceAlgorithmE0EEdLj64ELj3ELj100EEvPKT0_PS4_: ; @_Z6kernelI6reduceILN6hipcub20BlockReduceAlgorithmE0EEdLj64ELj3ELj100EEvPKT0_PS4_
; %bb.0:
	s_load_b32 s2, s[0:1], 0x1c
	s_mov_b32 s4, s15
	v_mbcnt_lo_u32_b32 v10, -1, 0
	s_delay_alu instid0(VALU_DEP_1) | instskip(NEXT) | instid1(VALU_DEP_1)
	v_and_b32_e32 v9, 1, v10
	v_lshlrev_b32_e32 v9, 3, v9
	s_waitcnt lgkmcnt(0)
	s_and_b32 s2, s2, 0xffff
	s_delay_alu instid0(SALU_CYCLE_1) | instskip(SKIP_1) | instid1(VALU_DEP_1)
	v_mad_u64_u32 v[1:2], null, s4, s2, v[0:1]
	s_load_b128 s[0:3], s[0:1], 0x0
	v_lshl_add_u32 v1, v1, 1, v1
	s_delay_alu instid0(VALU_DEP_1) | instskip(NEXT) | instid1(VALU_DEP_1)
	v_dual_mov_b32 v2, 0 :: v_dual_add_nc_u32 v3, 1, v1
	v_mov_b32_e32 v4, v2
	v_lshlrev_b64 v[5:6], 3, v[1:2]
	v_add_nc_u32_e32 v1, 2, v1
	s_delay_alu instid0(VALU_DEP_3) | instskip(NEXT) | instid1(VALU_DEP_2)
	v_lshlrev_b64 v[3:4], 3, v[3:4]
	v_lshlrev_b64 v[1:2], 3, v[1:2]
	s_waitcnt lgkmcnt(0)
	s_delay_alu instid0(VALU_DEP_4) | instskip(SKIP_1) | instid1(VALU_DEP_4)
	v_add_co_u32 v5, vcc_lo, s0, v5
	v_add_co_ci_u32_e32 v6, vcc_lo, s1, v6, vcc_lo
	v_add_co_u32 v3, vcc_lo, s0, v3
	v_add_co_ci_u32_e32 v4, vcc_lo, s1, v4, vcc_lo
	;; [unrolled: 2-line block ×3, first 2 shown]
	s_clause 0x2
	global_load_b64 v[5:6], v[5:6], off
	global_load_b64 v[1:2], v[3:4], off
	;; [unrolled: 1-line block ×3, first 2 shown]
	v_lshrrev_b32_e32 v8, 2, v0
	v_mov_b32_e32 v7, 0x7c
	v_cmp_eq_u32_e32 vcc_lo, 0, v10
	v_cmp_gt_u32_e64 s0, 32, v0
	v_lshl_or_b32 v10, v10, 2, 4
	v_and_b32_e32 v8, 8, v8
	s_movk_i32 s1, 0x64
	s_branch .LBB16_2
.LBB16_1:                               ;   in Loop: Header=BB16_2 Depth=1
	s_or_b32 exec_lo, exec_lo, s5
	s_add_i32 s1, s1, -1
	s_delay_alu instid0(SALU_CYCLE_1)
	s_cmp_eq_u32 s1, 0
	s_cbranch_scc1 .LBB16_6
.LBB16_2:                               ; =>This Inner Loop Header: Depth=1
	s_waitcnt vmcnt(1)
	s_delay_alu instid0(VALU_DEP_1) | instskip(SKIP_1) | instid1(VALU_DEP_1)
	v_add_f64 v[5:6], v[5:6], v[1:2]
	s_waitcnt vmcnt(0)
	v_add_f64 v[5:6], v[3:4], v[5:6]
	s_delay_alu instid0(VALU_DEP_1) | instskip(NEXT) | instid1(VALU_DEP_2)
	v_mov_b32_dpp v11, v5 quad_perm:[1,0,3,2] row_mask:0xf bank_mask:0xf
	v_mov_b32_dpp v12, v6 quad_perm:[1,0,3,2] row_mask:0xf bank_mask:0xf
	s_delay_alu instid0(VALU_DEP_1) | instskip(NEXT) | instid1(VALU_DEP_1)
	v_add_f64 v[5:6], v[5:6], v[11:12]
	v_mov_b32_dpp v11, v5 quad_perm:[2,3,0,1] row_mask:0xf bank_mask:0xf
	s_delay_alu instid0(VALU_DEP_2) | instskip(NEXT) | instid1(VALU_DEP_1)
	v_mov_b32_dpp v12, v6 quad_perm:[2,3,0,1] row_mask:0xf bank_mask:0xf
	v_add_f64 v[5:6], v[5:6], v[11:12]
	s_delay_alu instid0(VALU_DEP_1) | instskip(NEXT) | instid1(VALU_DEP_2)
	v_mov_b32_dpp v11, v5 row_ror:4 row_mask:0xf bank_mask:0xf
	v_mov_b32_dpp v12, v6 row_ror:4 row_mask:0xf bank_mask:0xf
	s_delay_alu instid0(VALU_DEP_1) | instskip(NEXT) | instid1(VALU_DEP_1)
	v_add_f64 v[5:6], v[5:6], v[11:12]
	v_mov_b32_dpp v11, v5 row_ror:8 row_mask:0xf bank_mask:0xf
	s_delay_alu instid0(VALU_DEP_2) | instskip(NEXT) | instid1(VALU_DEP_1)
	v_mov_b32_dpp v12, v6 row_ror:8 row_mask:0xf bank_mask:0xf
	v_add_f64 v[5:6], v[5:6], v[11:12]
	ds_swizzle_b32 v11, v5 offset:swizzle(BROADCAST,32,15)
	ds_swizzle_b32 v12, v6 offset:swizzle(BROADCAST,32,15)
	s_waitcnt lgkmcnt(0)
	v_add_f64 v[5:6], v[5:6], v[11:12]
	ds_bpermute_b32 v5, v7, v5
	ds_bpermute_b32 v6, v7, v6
	s_and_saveexec_b32 s5, vcc_lo
	s_cbranch_execz .LBB16_4
; %bb.3:                                ;   in Loop: Header=BB16_2 Depth=1
	s_waitcnt lgkmcnt(0)
	ds_store_b64 v8, v[5:6]
.LBB16_4:                               ;   in Loop: Header=BB16_2 Depth=1
	s_or_b32 exec_lo, exec_lo, s5
	s_waitcnt lgkmcnt(0)
	s_barrier
	buffer_gl0_inv
	s_and_saveexec_b32 s5, s0
	s_cbranch_execz .LBB16_1
; %bb.5:                                ;   in Loop: Header=BB16_2 Depth=1
	ds_load_b64 v[5:6], v9
	s_waitcnt lgkmcnt(0)
	ds_bpermute_b32 v11, v10, v5
	ds_bpermute_b32 v12, v10, v6
	s_waitcnt lgkmcnt(0)
	v_add_f64 v[5:6], v[5:6], v[11:12]
	s_branch .LBB16_1
.LBB16_6:
	s_mov_b32 s5, 0
	s_mov_b32 s0, exec_lo
	v_cmpx_eq_u32_e32 0, v0
	s_cbranch_execz .LBB16_8
; %bb.7:
	s_lshl_b64 s[0:1], s[4:5], 3
	v_mov_b32_e32 v0, 0
	s_add_u32 s0, s2, s0
	s_addc_u32 s1, s3, s1
	global_store_b64 v0, v[5:6], s[0:1]
.LBB16_8:
	s_nop 0
	s_sendmsg sendmsg(MSG_DEALLOC_VGPRS)
	s_endpgm
	.section	.rodata,"a",@progbits
	.p2align	6, 0x0
	.amdhsa_kernel _Z6kernelI6reduceILN6hipcub20BlockReduceAlgorithmE0EEdLj64ELj3ELj100EEvPKT0_PS4_
		.amdhsa_group_segment_fixed_size 16
		.amdhsa_private_segment_fixed_size 0
		.amdhsa_kernarg_size 272
		.amdhsa_user_sgpr_count 15
		.amdhsa_user_sgpr_dispatch_ptr 0
		.amdhsa_user_sgpr_queue_ptr 0
		.amdhsa_user_sgpr_kernarg_segment_ptr 1
		.amdhsa_user_sgpr_dispatch_id 0
		.amdhsa_user_sgpr_private_segment_size 0
		.amdhsa_wavefront_size32 1
		.amdhsa_uses_dynamic_stack 0
		.amdhsa_enable_private_segment 0
		.amdhsa_system_sgpr_workgroup_id_x 1
		.amdhsa_system_sgpr_workgroup_id_y 0
		.amdhsa_system_sgpr_workgroup_id_z 0
		.amdhsa_system_sgpr_workgroup_info 0
		.amdhsa_system_vgpr_workitem_id 0
		.amdhsa_next_free_vgpr 13
		.amdhsa_next_free_sgpr 16
		.amdhsa_reserve_vcc 1
		.amdhsa_float_round_mode_32 0
		.amdhsa_float_round_mode_16_64 0
		.amdhsa_float_denorm_mode_32 3
		.amdhsa_float_denorm_mode_16_64 3
		.amdhsa_dx10_clamp 1
		.amdhsa_ieee_mode 1
		.amdhsa_fp16_overflow 0
		.amdhsa_workgroup_processor_mode 1
		.amdhsa_memory_ordered 1
		.amdhsa_forward_progress 0
		.amdhsa_shared_vgpr_count 0
		.amdhsa_exception_fp_ieee_invalid_op 0
		.amdhsa_exception_fp_denorm_src 0
		.amdhsa_exception_fp_ieee_div_zero 0
		.amdhsa_exception_fp_ieee_overflow 0
		.amdhsa_exception_fp_ieee_underflow 0
		.amdhsa_exception_fp_ieee_inexact 0
		.amdhsa_exception_int_div_zero 0
	.end_amdhsa_kernel
	.section	.text._Z6kernelI6reduceILN6hipcub20BlockReduceAlgorithmE0EEdLj64ELj3ELj100EEvPKT0_PS4_,"axG",@progbits,_Z6kernelI6reduceILN6hipcub20BlockReduceAlgorithmE0EEdLj64ELj3ELj100EEvPKT0_PS4_,comdat
.Lfunc_end16:
	.size	_Z6kernelI6reduceILN6hipcub20BlockReduceAlgorithmE0EEdLj64ELj3ELj100EEvPKT0_PS4_, .Lfunc_end16-_Z6kernelI6reduceILN6hipcub20BlockReduceAlgorithmE0EEdLj64ELj3ELj100EEvPKT0_PS4_
                                        ; -- End function
	.section	.AMDGPU.csdata,"",@progbits
; Kernel info:
; codeLenInByte = 592
; NumSgprs: 18
; NumVgprs: 13
; ScratchSize: 0
; MemoryBound: 0
; FloatMode: 240
; IeeeMode: 1
; LDSByteSize: 16 bytes/workgroup (compile time only)
; SGPRBlocks: 2
; VGPRBlocks: 1
; NumSGPRsForWavesPerEU: 18
; NumVGPRsForWavesPerEU: 13
; Occupancy: 16
; WaveLimiterHint : 0
; COMPUTE_PGM_RSRC2:SCRATCH_EN: 0
; COMPUTE_PGM_RSRC2:USER_SGPR: 15
; COMPUTE_PGM_RSRC2:TRAP_HANDLER: 0
; COMPUTE_PGM_RSRC2:TGID_X_EN: 1
; COMPUTE_PGM_RSRC2:TGID_Y_EN: 0
; COMPUTE_PGM_RSRC2:TGID_Z_EN: 0
; COMPUTE_PGM_RSRC2:TIDIG_COMP_CNT: 0
	.section	.text._Z6kernelI6reduceILN6hipcub20BlockReduceAlgorithmE0EEdLj64ELj4ELj100EEvPKT0_PS4_,"axG",@progbits,_Z6kernelI6reduceILN6hipcub20BlockReduceAlgorithmE0EEdLj64ELj4ELj100EEvPKT0_PS4_,comdat
	.protected	_Z6kernelI6reduceILN6hipcub20BlockReduceAlgorithmE0EEdLj64ELj4ELj100EEvPKT0_PS4_ ; -- Begin function _Z6kernelI6reduceILN6hipcub20BlockReduceAlgorithmE0EEdLj64ELj4ELj100EEvPKT0_PS4_
	.globl	_Z6kernelI6reduceILN6hipcub20BlockReduceAlgorithmE0EEdLj64ELj4ELj100EEvPKT0_PS4_
	.p2align	8
	.type	_Z6kernelI6reduceILN6hipcub20BlockReduceAlgorithmE0EEdLj64ELj4ELj100EEvPKT0_PS4_,@function
_Z6kernelI6reduceILN6hipcub20BlockReduceAlgorithmE0EEdLj64ELj4ELj100EEvPKT0_PS4_: ; @_Z6kernelI6reduceILN6hipcub20BlockReduceAlgorithmE0EEdLj64ELj4ELj100EEvPKT0_PS4_
; %bb.0:
	s_clause 0x1
	s_load_b32 s5, s[0:1], 0x1c
	s_load_b128 s[0:3], s[0:1], 0x0
	v_mbcnt_lo_u32_b32 v12, -1, 0
	v_mov_b32_e32 v2, 0
	v_lshrrev_b32_e32 v10, 2, v0
	v_mov_b32_e32 v9, 0x7c
	s_mov_b32 s4, s15
	v_and_b32_e32 v11, 1, v12
	s_delay_alu instid0(VALU_DEP_3) | instskip(NEXT) | instid1(VALU_DEP_2)
	v_and_b32_e32 v10, 8, v10
	v_lshlrev_b32_e32 v11, 3, v11
	s_waitcnt lgkmcnt(0)
	s_and_b32 s5, s5, 0xffff
	s_delay_alu instid0(SALU_CYCLE_1) | instskip(NEXT) | instid1(SALU_CYCLE_1)
	s_mul_i32 s5, s15, s5
	v_add_lshl_u32 v1, s5, v0, 2
	s_delay_alu instid0(VALU_DEP_1) | instskip(NEXT) | instid1(VALU_DEP_1)
	v_lshlrev_b64 v[1:2], 3, v[1:2]
	v_add_co_u32 v1, vcc_lo, s0, v1
	s_delay_alu instid0(VALU_DEP_2)
	v_add_co_ci_u32_e32 v2, vcc_lo, s1, v2, vcc_lo
	v_cmp_eq_u32_e32 vcc_lo, 0, v12
	v_cmp_gt_u32_e64 s0, 32, v0
	v_lshl_or_b32 v12, v12, 2, 4
	s_clause 0x1
	global_load_b128 v[5:8], v[1:2], off offset:16
	global_load_b128 v[1:4], v[1:2], off
	s_movk_i32 s1, 0x64
	s_branch .LBB17_2
.LBB17_1:                               ;   in Loop: Header=BB17_2 Depth=1
	s_or_b32 exec_lo, exec_lo, s5
	s_add_i32 s1, s1, -1
	s_delay_alu instid0(SALU_CYCLE_1)
	s_cmp_eq_u32 s1, 0
	s_cbranch_scc1 .LBB17_6
.LBB17_2:                               ; =>This Inner Loop Header: Depth=1
	s_waitcnt vmcnt(0)
	s_delay_alu instid0(VALU_DEP_1) | instskip(NEXT) | instid1(VALU_DEP_1)
	v_add_f64 v[1:2], v[1:2], v[3:4]
	v_add_f64 v[1:2], v[5:6], v[1:2]
	s_delay_alu instid0(VALU_DEP_1) | instskip(NEXT) | instid1(VALU_DEP_1)
	v_add_f64 v[1:2], v[7:8], v[1:2]
	v_mov_b32_dpp v13, v1 quad_perm:[1,0,3,2] row_mask:0xf bank_mask:0xf
	s_delay_alu instid0(VALU_DEP_2) | instskip(NEXT) | instid1(VALU_DEP_1)
	v_mov_b32_dpp v14, v2 quad_perm:[1,0,3,2] row_mask:0xf bank_mask:0xf
	v_add_f64 v[1:2], v[1:2], v[13:14]
	s_delay_alu instid0(VALU_DEP_1) | instskip(NEXT) | instid1(VALU_DEP_2)
	v_mov_b32_dpp v13, v1 quad_perm:[2,3,0,1] row_mask:0xf bank_mask:0xf
	v_mov_b32_dpp v14, v2 quad_perm:[2,3,0,1] row_mask:0xf bank_mask:0xf
	s_delay_alu instid0(VALU_DEP_1) | instskip(NEXT) | instid1(VALU_DEP_1)
	v_add_f64 v[1:2], v[1:2], v[13:14]
	v_mov_b32_dpp v13, v1 row_ror:4 row_mask:0xf bank_mask:0xf
	s_delay_alu instid0(VALU_DEP_2) | instskip(NEXT) | instid1(VALU_DEP_1)
	v_mov_b32_dpp v14, v2 row_ror:4 row_mask:0xf bank_mask:0xf
	v_add_f64 v[1:2], v[1:2], v[13:14]
	s_delay_alu instid0(VALU_DEP_1) | instskip(NEXT) | instid1(VALU_DEP_2)
	v_mov_b32_dpp v13, v1 row_ror:8 row_mask:0xf bank_mask:0xf
	v_mov_b32_dpp v14, v2 row_ror:8 row_mask:0xf bank_mask:0xf
	s_delay_alu instid0(VALU_DEP_1)
	v_add_f64 v[1:2], v[1:2], v[13:14]
	ds_swizzle_b32 v13, v1 offset:swizzle(BROADCAST,32,15)
	ds_swizzle_b32 v14, v2 offset:swizzle(BROADCAST,32,15)
	s_waitcnt lgkmcnt(0)
	v_add_f64 v[1:2], v[1:2], v[13:14]
	ds_bpermute_b32 v1, v9, v1
	ds_bpermute_b32 v2, v9, v2
	s_and_saveexec_b32 s5, vcc_lo
	s_cbranch_execz .LBB17_4
; %bb.3:                                ;   in Loop: Header=BB17_2 Depth=1
	s_waitcnt lgkmcnt(0)
	ds_store_b64 v10, v[1:2]
.LBB17_4:                               ;   in Loop: Header=BB17_2 Depth=1
	s_or_b32 exec_lo, exec_lo, s5
	s_waitcnt lgkmcnt(0)
	s_barrier
	buffer_gl0_inv
	s_and_saveexec_b32 s5, s0
	s_cbranch_execz .LBB17_1
; %bb.5:                                ;   in Loop: Header=BB17_2 Depth=1
	ds_load_b64 v[1:2], v11
	s_waitcnt lgkmcnt(0)
	ds_bpermute_b32 v13, v12, v1
	ds_bpermute_b32 v14, v12, v2
	s_waitcnt lgkmcnt(0)
	v_add_f64 v[1:2], v[1:2], v[13:14]
	s_branch .LBB17_1
.LBB17_6:
	s_mov_b32 s5, 0
	s_mov_b32 s0, exec_lo
	v_cmpx_eq_u32_e32 0, v0
	s_cbranch_execz .LBB17_8
; %bb.7:
	s_lshl_b64 s[0:1], s[4:5], 3
	v_mov_b32_e32 v0, 0
	s_add_u32 s0, s2, s0
	s_addc_u32 s1, s3, s1
	global_store_b64 v0, v[1:2], s[0:1]
.LBB17_8:
	s_nop 0
	s_sendmsg sendmsg(MSG_DEALLOC_VGPRS)
	s_endpgm
	.section	.rodata,"a",@progbits
	.p2align	6, 0x0
	.amdhsa_kernel _Z6kernelI6reduceILN6hipcub20BlockReduceAlgorithmE0EEdLj64ELj4ELj100EEvPKT0_PS4_
		.amdhsa_group_segment_fixed_size 16
		.amdhsa_private_segment_fixed_size 0
		.amdhsa_kernarg_size 272
		.amdhsa_user_sgpr_count 15
		.amdhsa_user_sgpr_dispatch_ptr 0
		.amdhsa_user_sgpr_queue_ptr 0
		.amdhsa_user_sgpr_kernarg_segment_ptr 1
		.amdhsa_user_sgpr_dispatch_id 0
		.amdhsa_user_sgpr_private_segment_size 0
		.amdhsa_wavefront_size32 1
		.amdhsa_uses_dynamic_stack 0
		.amdhsa_enable_private_segment 0
		.amdhsa_system_sgpr_workgroup_id_x 1
		.amdhsa_system_sgpr_workgroup_id_y 0
		.amdhsa_system_sgpr_workgroup_id_z 0
		.amdhsa_system_sgpr_workgroup_info 0
		.amdhsa_system_vgpr_workitem_id 0
		.amdhsa_next_free_vgpr 15
		.amdhsa_next_free_sgpr 16
		.amdhsa_reserve_vcc 1
		.amdhsa_float_round_mode_32 0
		.amdhsa_float_round_mode_16_64 0
		.amdhsa_float_denorm_mode_32 3
		.amdhsa_float_denorm_mode_16_64 3
		.amdhsa_dx10_clamp 1
		.amdhsa_ieee_mode 1
		.amdhsa_fp16_overflow 0
		.amdhsa_workgroup_processor_mode 1
		.amdhsa_memory_ordered 1
		.amdhsa_forward_progress 0
		.amdhsa_shared_vgpr_count 0
		.amdhsa_exception_fp_ieee_invalid_op 0
		.amdhsa_exception_fp_denorm_src 0
		.amdhsa_exception_fp_ieee_div_zero 0
		.amdhsa_exception_fp_ieee_overflow 0
		.amdhsa_exception_fp_ieee_underflow 0
		.amdhsa_exception_fp_ieee_inexact 0
		.amdhsa_exception_int_div_zero 0
	.end_amdhsa_kernel
	.section	.text._Z6kernelI6reduceILN6hipcub20BlockReduceAlgorithmE0EEdLj64ELj4ELj100EEvPKT0_PS4_,"axG",@progbits,_Z6kernelI6reduceILN6hipcub20BlockReduceAlgorithmE0EEdLj64ELj4ELj100EEvPKT0_PS4_,comdat
.Lfunc_end17:
	.size	_Z6kernelI6reduceILN6hipcub20BlockReduceAlgorithmE0EEdLj64ELj4ELj100EEvPKT0_PS4_, .Lfunc_end17-_Z6kernelI6reduceILN6hipcub20BlockReduceAlgorithmE0EEdLj64ELj4ELj100EEvPKT0_PS4_
                                        ; -- End function
	.section	.AMDGPU.csdata,"",@progbits
; Kernel info:
; codeLenInByte = 532
; NumSgprs: 18
; NumVgprs: 15
; ScratchSize: 0
; MemoryBound: 0
; FloatMode: 240
; IeeeMode: 1
; LDSByteSize: 16 bytes/workgroup (compile time only)
; SGPRBlocks: 2
; VGPRBlocks: 1
; NumSGPRsForWavesPerEU: 18
; NumVGPRsForWavesPerEU: 15
; Occupancy: 16
; WaveLimiterHint : 0
; COMPUTE_PGM_RSRC2:SCRATCH_EN: 0
; COMPUTE_PGM_RSRC2:USER_SGPR: 15
; COMPUTE_PGM_RSRC2:TRAP_HANDLER: 0
; COMPUTE_PGM_RSRC2:TGID_X_EN: 1
; COMPUTE_PGM_RSRC2:TGID_Y_EN: 0
; COMPUTE_PGM_RSRC2:TGID_Z_EN: 0
; COMPUTE_PGM_RSRC2:TIDIG_COMP_CNT: 0
	.section	.text._Z6kernelI6reduceILN6hipcub20BlockReduceAlgorithmE0EEdLj64ELj8ELj100EEvPKT0_PS4_,"axG",@progbits,_Z6kernelI6reduceILN6hipcub20BlockReduceAlgorithmE0EEdLj64ELj8ELj100EEvPKT0_PS4_,comdat
	.protected	_Z6kernelI6reduceILN6hipcub20BlockReduceAlgorithmE0EEdLj64ELj8ELj100EEvPKT0_PS4_ ; -- Begin function _Z6kernelI6reduceILN6hipcub20BlockReduceAlgorithmE0EEdLj64ELj8ELj100EEvPKT0_PS4_
	.globl	_Z6kernelI6reduceILN6hipcub20BlockReduceAlgorithmE0EEdLj64ELj8ELj100EEvPKT0_PS4_
	.p2align	8
	.type	_Z6kernelI6reduceILN6hipcub20BlockReduceAlgorithmE0EEdLj64ELj8ELj100EEvPKT0_PS4_,@function
_Z6kernelI6reduceILN6hipcub20BlockReduceAlgorithmE0EEdLj64ELj8ELj100EEvPKT0_PS4_: ; @_Z6kernelI6reduceILN6hipcub20BlockReduceAlgorithmE0EEdLj64ELj8ELj100EEvPKT0_PS4_
; %bb.0:
	s_clause 0x1
	s_load_b32 s5, s[0:1], 0x1c
	s_load_b128 s[0:3], s[0:1], 0x0
	v_mbcnt_lo_u32_b32 v20, -1, 0
	v_mov_b32_e32 v2, 0
	v_lshrrev_b32_e32 v18, 2, v0
	v_mov_b32_e32 v17, 0x7c
	s_mov_b32 s4, s15
	v_and_b32_e32 v19, 1, v20
	s_delay_alu instid0(VALU_DEP_3) | instskip(NEXT) | instid1(VALU_DEP_2)
	v_and_b32_e32 v18, 8, v18
	v_lshlrev_b32_e32 v19, 3, v19
	s_waitcnt lgkmcnt(0)
	s_and_b32 s5, s5, 0xffff
	s_delay_alu instid0(SALU_CYCLE_1) | instskip(NEXT) | instid1(SALU_CYCLE_1)
	s_mul_i32 s5, s15, s5
	v_add_lshl_u32 v1, s5, v0, 3
	s_delay_alu instid0(VALU_DEP_1) | instskip(NEXT) | instid1(VALU_DEP_1)
	v_lshlrev_b64 v[1:2], 3, v[1:2]
	v_add_co_u32 v1, vcc_lo, s0, v1
	s_delay_alu instid0(VALU_DEP_2)
	v_add_co_ci_u32_e32 v2, vcc_lo, s1, v2, vcc_lo
	v_cmp_eq_u32_e32 vcc_lo, 0, v20
	v_cmp_gt_u32_e64 s0, 32, v0
	v_lshl_or_b32 v20, v20, 2, 4
	s_clause 0x3
	global_load_b128 v[5:8], v[1:2], off offset:48
	global_load_b128 v[9:12], v[1:2], off offset:32
	;; [unrolled: 1-line block ×3, first 2 shown]
	global_load_b128 v[1:4], v[1:2], off
	s_movk_i32 s1, 0x64
	s_branch .LBB18_2
.LBB18_1:                               ;   in Loop: Header=BB18_2 Depth=1
	s_or_b32 exec_lo, exec_lo, s5
	s_add_i32 s1, s1, -1
	s_delay_alu instid0(SALU_CYCLE_1)
	s_cmp_eq_u32 s1, 0
	s_cbranch_scc1 .LBB18_6
.LBB18_2:                               ; =>This Inner Loop Header: Depth=1
	s_waitcnt vmcnt(0)
	s_delay_alu instid0(VALU_DEP_1) | instskip(NEXT) | instid1(VALU_DEP_1)
	v_add_f64 v[1:2], v[3:4], v[1:2]
	v_add_f64 v[1:2], v[13:14], v[1:2]
	s_delay_alu instid0(VALU_DEP_1) | instskip(NEXT) | instid1(VALU_DEP_1)
	v_add_f64 v[1:2], v[15:16], v[1:2]
	v_add_f64 v[1:2], v[9:10], v[1:2]
	;; [unrolled: 3-line block ×3, first 2 shown]
	s_delay_alu instid0(VALU_DEP_1) | instskip(NEXT) | instid1(VALU_DEP_1)
	v_add_f64 v[1:2], v[7:8], v[1:2]
	v_mov_b32_dpp v21, v1 quad_perm:[1,0,3,2] row_mask:0xf bank_mask:0xf
	s_delay_alu instid0(VALU_DEP_2) | instskip(NEXT) | instid1(VALU_DEP_1)
	v_mov_b32_dpp v22, v2 quad_perm:[1,0,3,2] row_mask:0xf bank_mask:0xf
	v_add_f64 v[1:2], v[1:2], v[21:22]
	s_delay_alu instid0(VALU_DEP_1) | instskip(NEXT) | instid1(VALU_DEP_2)
	v_mov_b32_dpp v21, v1 quad_perm:[2,3,0,1] row_mask:0xf bank_mask:0xf
	v_mov_b32_dpp v22, v2 quad_perm:[2,3,0,1] row_mask:0xf bank_mask:0xf
	s_delay_alu instid0(VALU_DEP_1) | instskip(NEXT) | instid1(VALU_DEP_1)
	v_add_f64 v[1:2], v[1:2], v[21:22]
	v_mov_b32_dpp v21, v1 row_ror:4 row_mask:0xf bank_mask:0xf
	s_delay_alu instid0(VALU_DEP_2) | instskip(NEXT) | instid1(VALU_DEP_1)
	v_mov_b32_dpp v22, v2 row_ror:4 row_mask:0xf bank_mask:0xf
	v_add_f64 v[1:2], v[1:2], v[21:22]
	s_delay_alu instid0(VALU_DEP_1) | instskip(NEXT) | instid1(VALU_DEP_2)
	v_mov_b32_dpp v21, v1 row_ror:8 row_mask:0xf bank_mask:0xf
	v_mov_b32_dpp v22, v2 row_ror:8 row_mask:0xf bank_mask:0xf
	s_delay_alu instid0(VALU_DEP_1)
	v_add_f64 v[1:2], v[1:2], v[21:22]
	ds_swizzle_b32 v21, v1 offset:swizzle(BROADCAST,32,15)
	ds_swizzle_b32 v22, v2 offset:swizzle(BROADCAST,32,15)
	s_waitcnt lgkmcnt(0)
	v_add_f64 v[1:2], v[1:2], v[21:22]
	ds_bpermute_b32 v1, v17, v1
	ds_bpermute_b32 v2, v17, v2
	s_and_saveexec_b32 s5, vcc_lo
	s_cbranch_execz .LBB18_4
; %bb.3:                                ;   in Loop: Header=BB18_2 Depth=1
	s_waitcnt lgkmcnt(0)
	ds_store_b64 v18, v[1:2]
.LBB18_4:                               ;   in Loop: Header=BB18_2 Depth=1
	s_or_b32 exec_lo, exec_lo, s5
	s_waitcnt lgkmcnt(0)
	s_barrier
	buffer_gl0_inv
	s_and_saveexec_b32 s5, s0
	s_cbranch_execz .LBB18_1
; %bb.5:                                ;   in Loop: Header=BB18_2 Depth=1
	ds_load_b64 v[1:2], v19
	s_waitcnt lgkmcnt(0)
	ds_bpermute_b32 v21, v20, v1
	ds_bpermute_b32 v22, v20, v2
	s_waitcnt lgkmcnt(0)
	v_add_f64 v[1:2], v[1:2], v[21:22]
	s_branch .LBB18_1
.LBB18_6:
	s_mov_b32 s5, 0
	s_mov_b32 s0, exec_lo
	v_cmpx_eq_u32_e32 0, v0
	s_cbranch_execz .LBB18_8
; %bb.7:
	s_lshl_b64 s[0:1], s[4:5], 3
	v_mov_b32_e32 v0, 0
	s_add_u32 s0, s2, s0
	s_addc_u32 s1, s3, s1
	global_store_b64 v0, v[1:2], s[0:1]
.LBB18_8:
	s_nop 0
	s_sendmsg sendmsg(MSG_DEALLOC_VGPRS)
	s_endpgm
	.section	.rodata,"a",@progbits
	.p2align	6, 0x0
	.amdhsa_kernel _Z6kernelI6reduceILN6hipcub20BlockReduceAlgorithmE0EEdLj64ELj8ELj100EEvPKT0_PS4_
		.amdhsa_group_segment_fixed_size 16
		.amdhsa_private_segment_fixed_size 0
		.amdhsa_kernarg_size 272
		.amdhsa_user_sgpr_count 15
		.amdhsa_user_sgpr_dispatch_ptr 0
		.amdhsa_user_sgpr_queue_ptr 0
		.amdhsa_user_sgpr_kernarg_segment_ptr 1
		.amdhsa_user_sgpr_dispatch_id 0
		.amdhsa_user_sgpr_private_segment_size 0
		.amdhsa_wavefront_size32 1
		.amdhsa_uses_dynamic_stack 0
		.amdhsa_enable_private_segment 0
		.amdhsa_system_sgpr_workgroup_id_x 1
		.amdhsa_system_sgpr_workgroup_id_y 0
		.amdhsa_system_sgpr_workgroup_id_z 0
		.amdhsa_system_sgpr_workgroup_info 0
		.amdhsa_system_vgpr_workitem_id 0
		.amdhsa_next_free_vgpr 23
		.amdhsa_next_free_sgpr 16
		.amdhsa_reserve_vcc 1
		.amdhsa_float_round_mode_32 0
		.amdhsa_float_round_mode_16_64 0
		.amdhsa_float_denorm_mode_32 3
		.amdhsa_float_denorm_mode_16_64 3
		.amdhsa_dx10_clamp 1
		.amdhsa_ieee_mode 1
		.amdhsa_fp16_overflow 0
		.amdhsa_workgroup_processor_mode 1
		.amdhsa_memory_ordered 1
		.amdhsa_forward_progress 0
		.amdhsa_shared_vgpr_count 0
		.amdhsa_exception_fp_ieee_invalid_op 0
		.amdhsa_exception_fp_denorm_src 0
		.amdhsa_exception_fp_ieee_div_zero 0
		.amdhsa_exception_fp_ieee_overflow 0
		.amdhsa_exception_fp_ieee_underflow 0
		.amdhsa_exception_fp_ieee_inexact 0
		.amdhsa_exception_int_div_zero 0
	.end_amdhsa_kernel
	.section	.text._Z6kernelI6reduceILN6hipcub20BlockReduceAlgorithmE0EEdLj64ELj8ELj100EEvPKT0_PS4_,"axG",@progbits,_Z6kernelI6reduceILN6hipcub20BlockReduceAlgorithmE0EEdLj64ELj8ELj100EEvPKT0_PS4_,comdat
.Lfunc_end18:
	.size	_Z6kernelI6reduceILN6hipcub20BlockReduceAlgorithmE0EEdLj64ELj8ELj100EEvPKT0_PS4_, .Lfunc_end18-_Z6kernelI6reduceILN6hipcub20BlockReduceAlgorithmE0EEdLj64ELj8ELj100EEvPKT0_PS4_
                                        ; -- End function
	.section	.AMDGPU.csdata,"",@progbits
; Kernel info:
; codeLenInByte = 588
; NumSgprs: 18
; NumVgprs: 23
; ScratchSize: 0
; MemoryBound: 0
; FloatMode: 240
; IeeeMode: 1
; LDSByteSize: 16 bytes/workgroup (compile time only)
; SGPRBlocks: 2
; VGPRBlocks: 2
; NumSGPRsForWavesPerEU: 18
; NumVGPRsForWavesPerEU: 23
; Occupancy: 16
; WaveLimiterHint : 0
; COMPUTE_PGM_RSRC2:SCRATCH_EN: 0
; COMPUTE_PGM_RSRC2:USER_SGPR: 15
; COMPUTE_PGM_RSRC2:TRAP_HANDLER: 0
; COMPUTE_PGM_RSRC2:TGID_X_EN: 1
; COMPUTE_PGM_RSRC2:TGID_Y_EN: 0
; COMPUTE_PGM_RSRC2:TGID_Z_EN: 0
; COMPUTE_PGM_RSRC2:TIDIG_COMP_CNT: 0
	.section	.text._Z6kernelI6reduceILN6hipcub20BlockReduceAlgorithmE0EEdLj64ELj11ELj100EEvPKT0_PS4_,"axG",@progbits,_Z6kernelI6reduceILN6hipcub20BlockReduceAlgorithmE0EEdLj64ELj11ELj100EEvPKT0_PS4_,comdat
	.protected	_Z6kernelI6reduceILN6hipcub20BlockReduceAlgorithmE0EEdLj64ELj11ELj100EEvPKT0_PS4_ ; -- Begin function _Z6kernelI6reduceILN6hipcub20BlockReduceAlgorithmE0EEdLj64ELj11ELj100EEvPKT0_PS4_
	.globl	_Z6kernelI6reduceILN6hipcub20BlockReduceAlgorithmE0EEdLj64ELj11ELj100EEvPKT0_PS4_
	.p2align	8
	.type	_Z6kernelI6reduceILN6hipcub20BlockReduceAlgorithmE0EEdLj64ELj11ELj100EEvPKT0_PS4_,@function
_Z6kernelI6reduceILN6hipcub20BlockReduceAlgorithmE0EEdLj64ELj11ELj100EEvPKT0_PS4_: ; @_Z6kernelI6reduceILN6hipcub20BlockReduceAlgorithmE0EEdLj64ELj11ELj100EEvPKT0_PS4_
; %bb.0:
	s_load_b32 s2, s[0:1], 0x1c
	s_mov_b32 s4, s15
	v_mbcnt_lo_u32_b32 v26, -1, 0
	s_delay_alu instid0(VALU_DEP_1) | instskip(NEXT) | instid1(VALU_DEP_1)
	v_and_b32_e32 v25, 1, v26
	v_lshlrev_b32_e32 v25, 3, v25
	s_waitcnt lgkmcnt(0)
	s_and_b32 s2, s2, 0xffff
	s_delay_alu instid0(SALU_CYCLE_1) | instskip(SKIP_1) | instid1(VALU_DEP_1)
	v_mad_u64_u32 v[1:2], null, s4, s2, v[0:1]
	s_load_b128 s[0:3], s[0:1], 0x0
	v_mul_lo_u32 v9, v1, 11
	s_delay_alu instid0(VALU_DEP_1) | instskip(NEXT) | instid1(VALU_DEP_1)
	v_dual_mov_b32 v10, 0 :: v_dual_add_nc_u32 v1, 1, v9
	v_dual_mov_b32 v2, v10 :: v_dual_add_nc_u32 v3, 2, v9
	v_lshlrev_b64 v[17:18], 3, v[9:10]
	v_dual_mov_b32 v4, v10 :: v_dual_add_nc_u32 v5, 3, v9
	s_delay_alu instid0(VALU_DEP_3) | instskip(SKIP_1) | instid1(VALU_DEP_3)
	v_lshlrev_b64 v[1:2], 3, v[1:2]
	v_dual_mov_b32 v6, v10 :: v_dual_add_nc_u32 v7, 4, v9
	v_lshlrev_b64 v[3:4], 3, v[3:4]
	s_waitcnt lgkmcnt(0)
	v_add_co_u32 v17, vcc_lo, s0, v17
	v_dual_mov_b32 v8, v10 :: v_dual_add_nc_u32 v11, 5, v9
	v_add_co_ci_u32_e32 v18, vcc_lo, s1, v18, vcc_lo
	v_lshlrev_b64 v[5:6], 3, v[5:6]
	v_add_co_u32 v1, vcc_lo, s0, v1
	v_dual_mov_b32 v12, v10 :: v_dual_add_nc_u32 v13, 6, v9
	v_add_co_ci_u32_e32 v2, vcc_lo, s1, v2, vcc_lo
	v_lshlrev_b64 v[7:8], 3, v[7:8]
	v_add_co_u32 v3, vcc_lo, s0, v3
	v_dual_mov_b32 v14, v10 :: v_dual_add_nc_u32 v15, 7, v9
	v_add_co_ci_u32_e32 v4, vcc_lo, s1, v4, vcc_lo
	v_add_co_u32 v5, vcc_lo, s0, v5
	v_lshlrev_b64 v[11:12], 3, v[11:12]
	v_mov_b32_e32 v16, v10
	v_add_co_ci_u32_e32 v6, vcc_lo, s1, v6, vcc_lo
	v_add_co_u32 v19, vcc_lo, s0, v7
	v_lshlrev_b64 v[13:14], 3, v[13:14]
	v_add_co_ci_u32_e32 v20, vcc_lo, s1, v8, vcc_lo
	s_clause 0x3
	global_load_b64 v[7:8], v[17:18], off
	global_load_b64 v[1:2], v[1:2], off
	;; [unrolled: 1-line block ×4, first 2 shown]
	v_dual_mov_b32 v18, v10 :: v_dual_add_nc_u32 v17, 8, v9
	v_add_nc_u32_e32 v21, 9, v9
	v_add_co_u32 v11, vcc_lo, s0, v11
	v_lshlrev_b64 v[15:16], 3, v[15:16]
	v_dual_mov_b32 v22, v10 :: v_dual_add_nc_u32 v9, 10, v9
	v_add_co_ci_u32_e32 v12, vcc_lo, s1, v12, vcc_lo
	v_add_co_u32 v13, vcc_lo, s0, v13
	v_lshlrev_b64 v[17:18], 3, v[17:18]
	v_add_co_ci_u32_e32 v14, vcc_lo, s1, v14, vcc_lo
	v_add_co_u32 v15, vcc_lo, s0, v15
	v_lshlrev_b64 v[21:22], 3, v[21:22]
	;; [unrolled: 3-line block ×3, first 2 shown]
	v_add_co_ci_u32_e32 v18, vcc_lo, s1, v18, vcc_lo
	v_add_co_u32 v21, vcc_lo, s0, v21
	v_add_co_ci_u32_e32 v22, vcc_lo, s1, v22, vcc_lo
	s_delay_alu instid0(VALU_DEP_4)
	v_add_co_u32 v23, vcc_lo, s0, v9
	v_add_co_ci_u32_e32 v24, vcc_lo, s1, v10, vcc_lo
	s_clause 0x6
	global_load_b64 v[9:10], v[19:20], off
	global_load_b64 v[11:12], v[11:12], off
	;; [unrolled: 1-line block ×7, first 2 shown]
	v_lshrrev_b32_e32 v24, 2, v0
	v_mov_b32_e32 v23, 0x7c
	v_cmp_eq_u32_e32 vcc_lo, 0, v26
	v_cmp_gt_u32_e64 s0, 32, v0
	v_lshl_or_b32 v26, v26, 2, 4
	v_and_b32_e32 v24, 8, v24
	s_movk_i32 s1, 0x64
	s_branch .LBB19_2
.LBB19_1:                               ;   in Loop: Header=BB19_2 Depth=1
	s_or_b32 exec_lo, exec_lo, s5
	s_add_i32 s1, s1, -1
	s_delay_alu instid0(SALU_CYCLE_1)
	s_cmp_eq_u32 s1, 0
	s_cbranch_scc1 .LBB19_6
.LBB19_2:                               ; =>This Inner Loop Header: Depth=1
	s_waitcnt vmcnt(9)
	s_delay_alu instid0(VALU_DEP_1) | instskip(SKIP_1) | instid1(VALU_DEP_1)
	v_add_f64 v[7:8], v[1:2], v[7:8]
	s_waitcnt vmcnt(8)
	v_add_f64 v[7:8], v[3:4], v[7:8]
	s_waitcnt vmcnt(7)
	s_delay_alu instid0(VALU_DEP_1) | instskip(SKIP_1) | instid1(VALU_DEP_1)
	v_add_f64 v[7:8], v[5:6], v[7:8]
	s_waitcnt vmcnt(6)
	v_add_f64 v[7:8], v[9:10], v[7:8]
	;; [unrolled: 5-line block ×5, first 2 shown]
	s_delay_alu instid0(VALU_DEP_1) | instskip(NEXT) | instid1(VALU_DEP_2)
	v_mov_b32_dpp v27, v7 quad_perm:[1,0,3,2] row_mask:0xf bank_mask:0xf
	v_mov_b32_dpp v28, v8 quad_perm:[1,0,3,2] row_mask:0xf bank_mask:0xf
	s_delay_alu instid0(VALU_DEP_1) | instskip(NEXT) | instid1(VALU_DEP_1)
	v_add_f64 v[7:8], v[7:8], v[27:28]
	v_mov_b32_dpp v27, v7 quad_perm:[2,3,0,1] row_mask:0xf bank_mask:0xf
	s_delay_alu instid0(VALU_DEP_2) | instskip(NEXT) | instid1(VALU_DEP_1)
	v_mov_b32_dpp v28, v8 quad_perm:[2,3,0,1] row_mask:0xf bank_mask:0xf
	v_add_f64 v[7:8], v[7:8], v[27:28]
	s_delay_alu instid0(VALU_DEP_1) | instskip(NEXT) | instid1(VALU_DEP_2)
	v_mov_b32_dpp v27, v7 row_ror:4 row_mask:0xf bank_mask:0xf
	v_mov_b32_dpp v28, v8 row_ror:4 row_mask:0xf bank_mask:0xf
	s_delay_alu instid0(VALU_DEP_1) | instskip(NEXT) | instid1(VALU_DEP_1)
	v_add_f64 v[7:8], v[7:8], v[27:28]
	v_mov_b32_dpp v27, v7 row_ror:8 row_mask:0xf bank_mask:0xf
	s_delay_alu instid0(VALU_DEP_2) | instskip(NEXT) | instid1(VALU_DEP_1)
	v_mov_b32_dpp v28, v8 row_ror:8 row_mask:0xf bank_mask:0xf
	v_add_f64 v[7:8], v[7:8], v[27:28]
	ds_swizzle_b32 v27, v7 offset:swizzle(BROADCAST,32,15)
	ds_swizzle_b32 v28, v8 offset:swizzle(BROADCAST,32,15)
	s_waitcnt lgkmcnt(0)
	v_add_f64 v[7:8], v[7:8], v[27:28]
	ds_bpermute_b32 v7, v23, v7
	ds_bpermute_b32 v8, v23, v8
	s_and_saveexec_b32 s5, vcc_lo
	s_cbranch_execz .LBB19_4
; %bb.3:                                ;   in Loop: Header=BB19_2 Depth=1
	s_waitcnt lgkmcnt(0)
	ds_store_b64 v24, v[7:8]
.LBB19_4:                               ;   in Loop: Header=BB19_2 Depth=1
	s_or_b32 exec_lo, exec_lo, s5
	s_waitcnt lgkmcnt(0)
	s_barrier
	buffer_gl0_inv
	s_and_saveexec_b32 s5, s0
	s_cbranch_execz .LBB19_1
; %bb.5:                                ;   in Loop: Header=BB19_2 Depth=1
	ds_load_b64 v[7:8], v25
	s_waitcnt lgkmcnt(0)
	ds_bpermute_b32 v27, v26, v7
	ds_bpermute_b32 v28, v26, v8
	s_waitcnt lgkmcnt(0)
	v_add_f64 v[7:8], v[7:8], v[27:28]
	s_branch .LBB19_1
.LBB19_6:
	s_mov_b32 s5, 0
	s_mov_b32 s0, exec_lo
	v_cmpx_eq_u32_e32 0, v0
	s_cbranch_execz .LBB19_8
; %bb.7:
	s_lshl_b64 s[0:1], s[4:5], 3
	v_mov_b32_e32 v0, 0
	s_add_u32 s0, s2, s0
	s_addc_u32 s1, s3, s1
	global_store_b64 v0, v[7:8], s[0:1]
.LBB19_8:
	s_nop 0
	s_sendmsg sendmsg(MSG_DEALLOC_VGPRS)
	s_endpgm
	.section	.rodata,"a",@progbits
	.p2align	6, 0x0
	.amdhsa_kernel _Z6kernelI6reduceILN6hipcub20BlockReduceAlgorithmE0EEdLj64ELj11ELj100EEvPKT0_PS4_
		.amdhsa_group_segment_fixed_size 16
		.amdhsa_private_segment_fixed_size 0
		.amdhsa_kernarg_size 272
		.amdhsa_user_sgpr_count 15
		.amdhsa_user_sgpr_dispatch_ptr 0
		.amdhsa_user_sgpr_queue_ptr 0
		.amdhsa_user_sgpr_kernarg_segment_ptr 1
		.amdhsa_user_sgpr_dispatch_id 0
		.amdhsa_user_sgpr_private_segment_size 0
		.amdhsa_wavefront_size32 1
		.amdhsa_uses_dynamic_stack 0
		.amdhsa_enable_private_segment 0
		.amdhsa_system_sgpr_workgroup_id_x 1
		.amdhsa_system_sgpr_workgroup_id_y 0
		.amdhsa_system_sgpr_workgroup_id_z 0
		.amdhsa_system_sgpr_workgroup_info 0
		.amdhsa_system_vgpr_workitem_id 0
		.amdhsa_next_free_vgpr 29
		.amdhsa_next_free_sgpr 16
		.amdhsa_reserve_vcc 1
		.amdhsa_float_round_mode_32 0
		.amdhsa_float_round_mode_16_64 0
		.amdhsa_float_denorm_mode_32 3
		.amdhsa_float_denorm_mode_16_64 3
		.amdhsa_dx10_clamp 1
		.amdhsa_ieee_mode 1
		.amdhsa_fp16_overflow 0
		.amdhsa_workgroup_processor_mode 1
		.amdhsa_memory_ordered 1
		.amdhsa_forward_progress 0
		.amdhsa_shared_vgpr_count 0
		.amdhsa_exception_fp_ieee_invalid_op 0
		.amdhsa_exception_fp_denorm_src 0
		.amdhsa_exception_fp_ieee_div_zero 0
		.amdhsa_exception_fp_ieee_overflow 0
		.amdhsa_exception_fp_ieee_underflow 0
		.amdhsa_exception_fp_ieee_inexact 0
		.amdhsa_exception_int_div_zero 0
	.end_amdhsa_kernel
	.section	.text._Z6kernelI6reduceILN6hipcub20BlockReduceAlgorithmE0EEdLj64ELj11ELj100EEvPKT0_PS4_,"axG",@progbits,_Z6kernelI6reduceILN6hipcub20BlockReduceAlgorithmE0EEdLj64ELj11ELj100EEvPKT0_PS4_,comdat
.Lfunc_end19:
	.size	_Z6kernelI6reduceILN6hipcub20BlockReduceAlgorithmE0EEdLj64ELj11ELj100EEvPKT0_PS4_, .Lfunc_end19-_Z6kernelI6reduceILN6hipcub20BlockReduceAlgorithmE0EEdLj64ELj11ELj100EEvPKT0_PS4_
                                        ; -- End function
	.section	.AMDGPU.csdata,"",@progbits
; Kernel info:
; codeLenInByte = 996
; NumSgprs: 18
; NumVgprs: 29
; ScratchSize: 0
; MemoryBound: 0
; FloatMode: 240
; IeeeMode: 1
; LDSByteSize: 16 bytes/workgroup (compile time only)
; SGPRBlocks: 2
; VGPRBlocks: 3
; NumSGPRsForWavesPerEU: 18
; NumVGPRsForWavesPerEU: 29
; Occupancy: 16
; WaveLimiterHint : 0
; COMPUTE_PGM_RSRC2:SCRATCH_EN: 0
; COMPUTE_PGM_RSRC2:USER_SGPR: 15
; COMPUTE_PGM_RSRC2:TRAP_HANDLER: 0
; COMPUTE_PGM_RSRC2:TGID_X_EN: 1
; COMPUTE_PGM_RSRC2:TGID_Y_EN: 0
; COMPUTE_PGM_RSRC2:TGID_Z_EN: 0
; COMPUTE_PGM_RSRC2:TIDIG_COMP_CNT: 0
	.section	.text._Z6kernelI6reduceILN6hipcub20BlockReduceAlgorithmE0EEdLj64ELj16ELj100EEvPKT0_PS4_,"axG",@progbits,_Z6kernelI6reduceILN6hipcub20BlockReduceAlgorithmE0EEdLj64ELj16ELj100EEvPKT0_PS4_,comdat
	.protected	_Z6kernelI6reduceILN6hipcub20BlockReduceAlgorithmE0EEdLj64ELj16ELj100EEvPKT0_PS4_ ; -- Begin function _Z6kernelI6reduceILN6hipcub20BlockReduceAlgorithmE0EEdLj64ELj16ELj100EEvPKT0_PS4_
	.globl	_Z6kernelI6reduceILN6hipcub20BlockReduceAlgorithmE0EEdLj64ELj16ELj100EEvPKT0_PS4_
	.p2align	8
	.type	_Z6kernelI6reduceILN6hipcub20BlockReduceAlgorithmE0EEdLj64ELj16ELj100EEvPKT0_PS4_,@function
_Z6kernelI6reduceILN6hipcub20BlockReduceAlgorithmE0EEdLj64ELj16ELj100EEvPKT0_PS4_: ; @_Z6kernelI6reduceILN6hipcub20BlockReduceAlgorithmE0EEdLj64ELj16ELj100EEvPKT0_PS4_
; %bb.0:
	s_clause 0x1
	s_load_b32 s5, s[0:1], 0x1c
	s_load_b128 s[0:3], s[0:1], 0x0
	v_mbcnt_lo_u32_b32 v36, -1, 0
	v_mov_b32_e32 v2, 0
	v_lshrrev_b32_e32 v34, 2, v0
	v_mov_b32_e32 v33, 0x7c
	s_mov_b32 s4, s15
	v_and_b32_e32 v35, 1, v36
	s_delay_alu instid0(VALU_DEP_3) | instskip(NEXT) | instid1(VALU_DEP_2)
	v_and_b32_e32 v34, 8, v34
	v_lshlrev_b32_e32 v35, 3, v35
	s_waitcnt lgkmcnt(0)
	s_and_b32 s5, s5, 0xffff
	s_delay_alu instid0(SALU_CYCLE_1) | instskip(NEXT) | instid1(SALU_CYCLE_1)
	s_mul_i32 s5, s15, s5
	v_add_lshl_u32 v1, s5, v0, 4
	s_delay_alu instid0(VALU_DEP_1) | instskip(NEXT) | instid1(VALU_DEP_1)
	v_lshlrev_b64 v[1:2], 3, v[1:2]
	v_add_co_u32 v29, vcc_lo, s0, v1
	s_delay_alu instid0(VALU_DEP_2)
	v_add_co_ci_u32_e32 v30, vcc_lo, s1, v2, vcc_lo
	v_cmp_eq_u32_e32 vcc_lo, 0, v36
	v_cmp_gt_u32_e64 s0, 32, v0
	v_lshl_or_b32 v36, v36, 2, 4
	s_clause 0x7
	global_load_b128 v[5:8], v[29:30], off offset:48
	global_load_b128 v[9:12], v[29:30], off offset:32
	;; [unrolled: 1-line block ×3, first 2 shown]
	global_load_b128 v[1:4], v[29:30], off
	global_load_b128 v[17:20], v[29:30], off offset:112
	global_load_b128 v[21:24], v[29:30], off offset:96
	;; [unrolled: 1-line block ×4, first 2 shown]
	s_movk_i32 s1, 0x64
	s_branch .LBB20_2
.LBB20_1:                               ;   in Loop: Header=BB20_2 Depth=1
	s_or_b32 exec_lo, exec_lo, s5
	s_add_i32 s1, s1, -1
	s_delay_alu instid0(SALU_CYCLE_1)
	s_cmp_eq_u32 s1, 0
	s_cbranch_scc1 .LBB20_6
.LBB20_2:                               ; =>This Inner Loop Header: Depth=1
	s_waitcnt vmcnt(4)
	s_delay_alu instid0(VALU_DEP_1) | instskip(NEXT) | instid1(VALU_DEP_1)
	v_add_f64 v[1:2], v[3:4], v[1:2]
	v_add_f64 v[1:2], v[13:14], v[1:2]
	s_delay_alu instid0(VALU_DEP_1) | instskip(NEXT) | instid1(VALU_DEP_1)
	v_add_f64 v[1:2], v[15:16], v[1:2]
	v_add_f64 v[1:2], v[9:10], v[1:2]
	;; [unrolled: 3-line block ×3, first 2 shown]
	s_delay_alu instid0(VALU_DEP_1) | instskip(SKIP_1) | instid1(VALU_DEP_1)
	v_add_f64 v[1:2], v[7:8], v[1:2]
	s_waitcnt vmcnt(0)
	v_add_f64 v[1:2], v[29:30], v[1:2]
	s_delay_alu instid0(VALU_DEP_1) | instskip(NEXT) | instid1(VALU_DEP_1)
	v_add_f64 v[1:2], v[31:32], v[1:2]
	v_add_f64 v[1:2], v[25:26], v[1:2]
	s_delay_alu instid0(VALU_DEP_1) | instskip(NEXT) | instid1(VALU_DEP_1)
	v_add_f64 v[1:2], v[27:28], v[1:2]
	v_add_f64 v[1:2], v[21:22], v[1:2]
	s_delay_alu instid0(VALU_DEP_1) | instskip(NEXT) | instid1(VALU_DEP_1)
	v_add_f64 v[1:2], v[23:24], v[1:2]
	v_add_f64 v[1:2], v[17:18], v[1:2]
	s_delay_alu instid0(VALU_DEP_1) | instskip(NEXT) | instid1(VALU_DEP_1)
	v_add_f64 v[1:2], v[19:20], v[1:2]
	v_mov_b32_dpp v37, v1 quad_perm:[1,0,3,2] row_mask:0xf bank_mask:0xf
	s_delay_alu instid0(VALU_DEP_2) | instskip(NEXT) | instid1(VALU_DEP_1)
	v_mov_b32_dpp v38, v2 quad_perm:[1,0,3,2] row_mask:0xf bank_mask:0xf
	v_add_f64 v[1:2], v[1:2], v[37:38]
	s_delay_alu instid0(VALU_DEP_1) | instskip(NEXT) | instid1(VALU_DEP_2)
	v_mov_b32_dpp v37, v1 quad_perm:[2,3,0,1] row_mask:0xf bank_mask:0xf
	v_mov_b32_dpp v38, v2 quad_perm:[2,3,0,1] row_mask:0xf bank_mask:0xf
	s_delay_alu instid0(VALU_DEP_1) | instskip(NEXT) | instid1(VALU_DEP_1)
	v_add_f64 v[1:2], v[1:2], v[37:38]
	v_mov_b32_dpp v37, v1 row_ror:4 row_mask:0xf bank_mask:0xf
	s_delay_alu instid0(VALU_DEP_2) | instskip(NEXT) | instid1(VALU_DEP_1)
	v_mov_b32_dpp v38, v2 row_ror:4 row_mask:0xf bank_mask:0xf
	v_add_f64 v[1:2], v[1:2], v[37:38]
	s_delay_alu instid0(VALU_DEP_1) | instskip(NEXT) | instid1(VALU_DEP_2)
	v_mov_b32_dpp v37, v1 row_ror:8 row_mask:0xf bank_mask:0xf
	v_mov_b32_dpp v38, v2 row_ror:8 row_mask:0xf bank_mask:0xf
	s_delay_alu instid0(VALU_DEP_1)
	v_add_f64 v[1:2], v[1:2], v[37:38]
	ds_swizzle_b32 v37, v1 offset:swizzle(BROADCAST,32,15)
	ds_swizzle_b32 v38, v2 offset:swizzle(BROADCAST,32,15)
	s_waitcnt lgkmcnt(0)
	v_add_f64 v[1:2], v[1:2], v[37:38]
	ds_bpermute_b32 v1, v33, v1
	ds_bpermute_b32 v2, v33, v2
	s_and_saveexec_b32 s5, vcc_lo
	s_cbranch_execz .LBB20_4
; %bb.3:                                ;   in Loop: Header=BB20_2 Depth=1
	s_waitcnt lgkmcnt(0)
	ds_store_b64 v34, v[1:2]
.LBB20_4:                               ;   in Loop: Header=BB20_2 Depth=1
	s_or_b32 exec_lo, exec_lo, s5
	s_waitcnt lgkmcnt(0)
	s_barrier
	buffer_gl0_inv
	s_and_saveexec_b32 s5, s0
	s_cbranch_execz .LBB20_1
; %bb.5:                                ;   in Loop: Header=BB20_2 Depth=1
	ds_load_b64 v[1:2], v35
	s_waitcnt lgkmcnt(0)
	ds_bpermute_b32 v37, v36, v1
	ds_bpermute_b32 v38, v36, v2
	s_waitcnt lgkmcnt(0)
	v_add_f64 v[1:2], v[1:2], v[37:38]
	s_branch .LBB20_1
.LBB20_6:
	s_mov_b32 s5, 0
	s_mov_b32 s0, exec_lo
	v_cmpx_eq_u32_e32 0, v0
	s_cbranch_execz .LBB20_8
; %bb.7:
	s_lshl_b64 s[0:1], s[4:5], 3
	v_mov_b32_e32 v0, 0
	s_add_u32 s0, s2, s0
	s_addc_u32 s1, s3, s1
	global_store_b64 v0, v[1:2], s[0:1]
.LBB20_8:
	s_nop 0
	s_sendmsg sendmsg(MSG_DEALLOC_VGPRS)
	s_endpgm
	.section	.rodata,"a",@progbits
	.p2align	6, 0x0
	.amdhsa_kernel _Z6kernelI6reduceILN6hipcub20BlockReduceAlgorithmE0EEdLj64ELj16ELj100EEvPKT0_PS4_
		.amdhsa_group_segment_fixed_size 16
		.amdhsa_private_segment_fixed_size 0
		.amdhsa_kernarg_size 272
		.amdhsa_user_sgpr_count 15
		.amdhsa_user_sgpr_dispatch_ptr 0
		.amdhsa_user_sgpr_queue_ptr 0
		.amdhsa_user_sgpr_kernarg_segment_ptr 1
		.amdhsa_user_sgpr_dispatch_id 0
		.amdhsa_user_sgpr_private_segment_size 0
		.amdhsa_wavefront_size32 1
		.amdhsa_uses_dynamic_stack 0
		.amdhsa_enable_private_segment 0
		.amdhsa_system_sgpr_workgroup_id_x 1
		.amdhsa_system_sgpr_workgroup_id_y 0
		.amdhsa_system_sgpr_workgroup_id_z 0
		.amdhsa_system_sgpr_workgroup_info 0
		.amdhsa_system_vgpr_workitem_id 0
		.amdhsa_next_free_vgpr 39
		.amdhsa_next_free_sgpr 16
		.amdhsa_reserve_vcc 1
		.amdhsa_float_round_mode_32 0
		.amdhsa_float_round_mode_16_64 0
		.amdhsa_float_denorm_mode_32 3
		.amdhsa_float_denorm_mode_16_64 3
		.amdhsa_dx10_clamp 1
		.amdhsa_ieee_mode 1
		.amdhsa_fp16_overflow 0
		.amdhsa_workgroup_processor_mode 1
		.amdhsa_memory_ordered 1
		.amdhsa_forward_progress 0
		.amdhsa_shared_vgpr_count 0
		.amdhsa_exception_fp_ieee_invalid_op 0
		.amdhsa_exception_fp_denorm_src 0
		.amdhsa_exception_fp_ieee_div_zero 0
		.amdhsa_exception_fp_ieee_overflow 0
		.amdhsa_exception_fp_ieee_underflow 0
		.amdhsa_exception_fp_ieee_inexact 0
		.amdhsa_exception_int_div_zero 0
	.end_amdhsa_kernel
	.section	.text._Z6kernelI6reduceILN6hipcub20BlockReduceAlgorithmE0EEdLj64ELj16ELj100EEvPKT0_PS4_,"axG",@progbits,_Z6kernelI6reduceILN6hipcub20BlockReduceAlgorithmE0EEdLj64ELj16ELj100EEvPKT0_PS4_,comdat
.Lfunc_end20:
	.size	_Z6kernelI6reduceILN6hipcub20BlockReduceAlgorithmE0EEdLj64ELj16ELj100EEvPKT0_PS4_, .Lfunc_end20-_Z6kernelI6reduceILN6hipcub20BlockReduceAlgorithmE0EEdLj64ELj16ELj100EEvPKT0_PS4_
                                        ; -- End function
	.section	.AMDGPU.csdata,"",@progbits
; Kernel info:
; codeLenInByte = 704
; NumSgprs: 18
; NumVgprs: 39
; ScratchSize: 0
; MemoryBound: 1
; FloatMode: 240
; IeeeMode: 1
; LDSByteSize: 16 bytes/workgroup (compile time only)
; SGPRBlocks: 2
; VGPRBlocks: 4
; NumSGPRsForWavesPerEU: 18
; NumVGPRsForWavesPerEU: 39
; Occupancy: 16
; WaveLimiterHint : 0
; COMPUTE_PGM_RSRC2:SCRATCH_EN: 0
; COMPUTE_PGM_RSRC2:USER_SGPR: 15
; COMPUTE_PGM_RSRC2:TRAP_HANDLER: 0
; COMPUTE_PGM_RSRC2:TGID_X_EN: 1
; COMPUTE_PGM_RSRC2:TGID_Y_EN: 0
; COMPUTE_PGM_RSRC2:TGID_Z_EN: 0
; COMPUTE_PGM_RSRC2:TIDIG_COMP_CNT: 0
	.section	.text._Z6kernelI6reduceILN6hipcub20BlockReduceAlgorithmE0EEaLj64ELj1ELj100EEvPKT0_PS4_,"axG",@progbits,_Z6kernelI6reduceILN6hipcub20BlockReduceAlgorithmE0EEaLj64ELj1ELj100EEvPKT0_PS4_,comdat
	.protected	_Z6kernelI6reduceILN6hipcub20BlockReduceAlgorithmE0EEaLj64ELj1ELj100EEvPKT0_PS4_ ; -- Begin function _Z6kernelI6reduceILN6hipcub20BlockReduceAlgorithmE0EEaLj64ELj1ELj100EEvPKT0_PS4_
	.globl	_Z6kernelI6reduceILN6hipcub20BlockReduceAlgorithmE0EEaLj64ELj1ELj100EEvPKT0_PS4_
	.p2align	8
	.type	_Z6kernelI6reduceILN6hipcub20BlockReduceAlgorithmE0EEaLj64ELj1ELj100EEvPKT0_PS4_,@function
_Z6kernelI6reduceILN6hipcub20BlockReduceAlgorithmE0EEaLj64ELj1ELj100EEvPKT0_PS4_: ; @_Z6kernelI6reduceILN6hipcub20BlockReduceAlgorithmE0EEaLj64ELj1ELj100EEvPKT0_PS4_
; %bb.0:
	s_clause 0x1
	s_load_b32 s4, s[0:1], 0x1c
	s_load_b128 s[0:3], s[0:1], 0x0
	v_mbcnt_lo_u32_b32 v5, -1, 0
	s_delay_alu instid0(VALU_DEP_1) | instskip(SKIP_4) | instid1(SALU_CYCLE_1)
	v_cmp_eq_u32_e32 vcc_lo, 0, v5
	v_and_b32_e32 v4, 1, v5
	v_lshl_or_b32 v5, v5, 2, 4
	s_waitcnt lgkmcnt(0)
	s_and_b32 s4, s4, 0xffff
	v_mad_u64_u32 v[1:2], null, s15, s4, v[0:1]
	v_lshrrev_b32_e32 v2, 5, v0
	global_load_u8 v3, v1, s[0:1]
	v_mov_b32_e32 v1, 0x7c
	v_cmp_gt_u32_e64 s0, 32, v0
	s_movk_i32 s1, 0x64
	s_branch .LBB21_2
.LBB21_1:                               ;   in Loop: Header=BB21_2 Depth=1
	s_or_b32 exec_lo, exec_lo, s4
	s_add_i32 s1, s1, -1
	s_delay_alu instid0(SALU_CYCLE_1)
	s_cmp_eq_u32 s1, 0
	s_cbranch_scc1 .LBB21_6
.LBB21_2:                               ; =>This Inner Loop Header: Depth=1
	s_waitcnt vmcnt(0)
	v_and_b32_e32 v6, 0xff, v3
	s_delay_alu instid0(VALU_DEP_1) | instskip(NEXT) | instid1(VALU_DEP_1)
	v_mov_b32_dpp v6, v6 quad_perm:[1,0,3,2] row_mask:0xf bank_mask:0xf
	v_add_nc_u16 v3, v3, v6
	s_delay_alu instid0(VALU_DEP_1) | instskip(NEXT) | instid1(VALU_DEP_1)
	v_and_b32_e32 v6, 0xff, v3
	v_mov_b32_dpp v6, v6 quad_perm:[2,3,0,1] row_mask:0xf bank_mask:0xf
	s_delay_alu instid0(VALU_DEP_1) | instskip(NEXT) | instid1(VALU_DEP_1)
	v_add_nc_u16 v3, v3, v6
	v_and_b32_e32 v6, 0xff, v3
	s_delay_alu instid0(VALU_DEP_1) | instskip(NEXT) | instid1(VALU_DEP_1)
	v_mov_b32_dpp v6, v6 row_ror:4 row_mask:0xf bank_mask:0xf
	v_add_nc_u16 v3, v3, v6
	s_delay_alu instid0(VALU_DEP_1) | instskip(NEXT) | instid1(VALU_DEP_1)
	v_and_b32_e32 v6, 0xff, v3
	v_mov_b32_dpp v6, v6 row_ror:8 row_mask:0xf bank_mask:0xf
	s_delay_alu instid0(VALU_DEP_1) | instskip(NEXT) | instid1(VALU_DEP_1)
	v_add_nc_u16 v3, v3, v6
	v_and_b32_e32 v6, 0xff, v3
	ds_swizzle_b32 v6, v6 offset:swizzle(BROADCAST,32,15)
	s_waitcnt lgkmcnt(0)
	v_add_nc_u16 v3, v3, v6
	s_delay_alu instid0(VALU_DEP_1)
	v_and_b32_e32 v3, 0xff, v3
	ds_bpermute_b32 v3, v1, v3
	s_and_saveexec_b32 s4, vcc_lo
	s_cbranch_execz .LBB21_4
; %bb.3:                                ;   in Loop: Header=BB21_2 Depth=1
	s_waitcnt lgkmcnt(0)
	ds_store_b8 v2, v3
.LBB21_4:                               ;   in Loop: Header=BB21_2 Depth=1
	s_or_b32 exec_lo, exec_lo, s4
	s_waitcnt lgkmcnt(0)
	s_barrier
	buffer_gl0_inv
	s_and_saveexec_b32 s4, s0
	s_cbranch_execz .LBB21_1
; %bb.5:                                ;   in Loop: Header=BB21_2 Depth=1
	ds_load_u8 v3, v4
	s_waitcnt lgkmcnt(0)
	v_and_b32_e32 v6, 0xff, v3
	ds_bpermute_b32 v6, v5, v6
	s_waitcnt lgkmcnt(0)
	v_add_nc_u16 v3, v3, v6
	s_branch .LBB21_1
.LBB21_6:
	s_mov_b32 s0, exec_lo
	v_cmpx_eq_u32_e32 0, v0
	s_cbranch_execz .LBB21_8
; %bb.7:
	v_mov_b32_e32 v0, s15
	global_store_b8 v0, v3, s[2:3]
.LBB21_8:
	s_nop 0
	s_sendmsg sendmsg(MSG_DEALLOC_VGPRS)
	s_endpgm
	.section	.rodata,"a",@progbits
	.p2align	6, 0x0
	.amdhsa_kernel _Z6kernelI6reduceILN6hipcub20BlockReduceAlgorithmE0EEaLj64ELj1ELj100EEvPKT0_PS4_
		.amdhsa_group_segment_fixed_size 2
		.amdhsa_private_segment_fixed_size 0
		.amdhsa_kernarg_size 272
		.amdhsa_user_sgpr_count 15
		.amdhsa_user_sgpr_dispatch_ptr 0
		.amdhsa_user_sgpr_queue_ptr 0
		.amdhsa_user_sgpr_kernarg_segment_ptr 1
		.amdhsa_user_sgpr_dispatch_id 0
		.amdhsa_user_sgpr_private_segment_size 0
		.amdhsa_wavefront_size32 1
		.amdhsa_uses_dynamic_stack 0
		.amdhsa_enable_private_segment 0
		.amdhsa_system_sgpr_workgroup_id_x 1
		.amdhsa_system_sgpr_workgroup_id_y 0
		.amdhsa_system_sgpr_workgroup_id_z 0
		.amdhsa_system_sgpr_workgroup_info 0
		.amdhsa_system_vgpr_workitem_id 0
		.amdhsa_next_free_vgpr 7
		.amdhsa_next_free_sgpr 16
		.amdhsa_reserve_vcc 1
		.amdhsa_float_round_mode_32 0
		.amdhsa_float_round_mode_16_64 0
		.amdhsa_float_denorm_mode_32 3
		.amdhsa_float_denorm_mode_16_64 3
		.amdhsa_dx10_clamp 1
		.amdhsa_ieee_mode 1
		.amdhsa_fp16_overflow 0
		.amdhsa_workgroup_processor_mode 1
		.amdhsa_memory_ordered 1
		.amdhsa_forward_progress 0
		.amdhsa_shared_vgpr_count 0
		.amdhsa_exception_fp_ieee_invalid_op 0
		.amdhsa_exception_fp_denorm_src 0
		.amdhsa_exception_fp_ieee_div_zero 0
		.amdhsa_exception_fp_ieee_overflow 0
		.amdhsa_exception_fp_ieee_underflow 0
		.amdhsa_exception_fp_ieee_inexact 0
		.amdhsa_exception_int_div_zero 0
	.end_amdhsa_kernel
	.section	.text._Z6kernelI6reduceILN6hipcub20BlockReduceAlgorithmE0EEaLj64ELj1ELj100EEvPKT0_PS4_,"axG",@progbits,_Z6kernelI6reduceILN6hipcub20BlockReduceAlgorithmE0EEaLj64ELj1ELj100EEvPKT0_PS4_,comdat
.Lfunc_end21:
	.size	_Z6kernelI6reduceILN6hipcub20BlockReduceAlgorithmE0EEaLj64ELj1ELj100EEvPKT0_PS4_, .Lfunc_end21-_Z6kernelI6reduceILN6hipcub20BlockReduceAlgorithmE0EEaLj64ELj1ELj100EEvPKT0_PS4_
                                        ; -- End function
	.section	.AMDGPU.csdata,"",@progbits
; Kernel info:
; codeLenInByte = 424
; NumSgprs: 18
; NumVgprs: 7
; ScratchSize: 0
; MemoryBound: 0
; FloatMode: 240
; IeeeMode: 1
; LDSByteSize: 2 bytes/workgroup (compile time only)
; SGPRBlocks: 2
; VGPRBlocks: 0
; NumSGPRsForWavesPerEU: 18
; NumVGPRsForWavesPerEU: 7
; Occupancy: 16
; WaveLimiterHint : 0
; COMPUTE_PGM_RSRC2:SCRATCH_EN: 0
; COMPUTE_PGM_RSRC2:USER_SGPR: 15
; COMPUTE_PGM_RSRC2:TRAP_HANDLER: 0
; COMPUTE_PGM_RSRC2:TGID_X_EN: 1
; COMPUTE_PGM_RSRC2:TGID_Y_EN: 0
; COMPUTE_PGM_RSRC2:TGID_Z_EN: 0
; COMPUTE_PGM_RSRC2:TIDIG_COMP_CNT: 0
	.section	.text._Z6kernelI6reduceILN6hipcub20BlockReduceAlgorithmE0EEaLj64ELj2ELj100EEvPKT0_PS4_,"axG",@progbits,_Z6kernelI6reduceILN6hipcub20BlockReduceAlgorithmE0EEaLj64ELj2ELj100EEvPKT0_PS4_,comdat
	.protected	_Z6kernelI6reduceILN6hipcub20BlockReduceAlgorithmE0EEaLj64ELj2ELj100EEvPKT0_PS4_ ; -- Begin function _Z6kernelI6reduceILN6hipcub20BlockReduceAlgorithmE0EEaLj64ELj2ELj100EEvPKT0_PS4_
	.globl	_Z6kernelI6reduceILN6hipcub20BlockReduceAlgorithmE0EEaLj64ELj2ELj100EEvPKT0_PS4_
	.p2align	8
	.type	_Z6kernelI6reduceILN6hipcub20BlockReduceAlgorithmE0EEaLj64ELj2ELj100EEvPKT0_PS4_,@function
_Z6kernelI6reduceILN6hipcub20BlockReduceAlgorithmE0EEaLj64ELj2ELj100EEvPKT0_PS4_: ; @_Z6kernelI6reduceILN6hipcub20BlockReduceAlgorithmE0EEaLj64ELj2ELj100EEvPKT0_PS4_
; %bb.0:
	s_clause 0x1
	s_load_b32 s4, s[0:1], 0x1c
	s_load_b128 s[0:3], s[0:1], 0x0
	v_mbcnt_lo_u32_b32 v5, -1, 0
	v_lshrrev_b32_e32 v3, 5, v0
	s_delay_alu instid0(VALU_DEP_2) | instskip(SKIP_4) | instid1(SALU_CYCLE_1)
	v_cmp_eq_u32_e32 vcc_lo, 0, v5
	v_and_b32_e32 v4, 1, v5
	v_lshl_or_b32 v5, v5, 2, 4
	s_waitcnt lgkmcnt(0)
	s_and_b32 s4, s4, 0xffff
	s_mul_i32 s4, s15, s4
	s_delay_alu instid0(SALU_CYCLE_1)
	v_add_lshl_u32 v1, s4, v0, 1
	global_load_u16 v2, v1, s[0:1]
	v_mov_b32_e32 v1, 0x7c
	v_cmp_gt_u32_e64 s0, 32, v0
	s_movk_i32 s1, 0x64
	s_branch .LBB22_2
.LBB22_1:                               ;   in Loop: Header=BB22_2 Depth=1
	s_or_b32 exec_lo, exec_lo, s4
	v_and_b32_e32 v2, 0xffffff00, v2
	s_delay_alu instid0(VALU_DEP_2) | instskip(SKIP_1) | instid1(SALU_CYCLE_1)
	v_and_b32_e32 v7, 0xff, v6
	s_add_i32 s1, s1, -1
	s_cmp_eq_u32 s1, 0
	s_delay_alu instid0(VALU_DEP_1) | instskip(NEXT) | instid1(VALU_DEP_1)
	v_or_b32_e32 v2, v7, v2
	v_and_b32_e32 v2, 0xffff, v2
	s_cbranch_scc1 .LBB22_6
.LBB22_2:                               ; =>This Inner Loop Header: Depth=1
	s_waitcnt vmcnt(0)
	s_delay_alu instid0(VALU_DEP_1) | instskip(NEXT) | instid1(VALU_DEP_1)
	v_lshrrev_b16 v6, 8, v2
	v_add_nc_u16 v6, v6, v2
	s_delay_alu instid0(VALU_DEP_1) | instskip(NEXT) | instid1(VALU_DEP_1)
	v_and_b32_e32 v7, 0xff, v6
	v_mov_b32_dpp v7, v7 quad_perm:[1,0,3,2] row_mask:0xf bank_mask:0xf
	s_delay_alu instid0(VALU_DEP_1) | instskip(NEXT) | instid1(VALU_DEP_1)
	v_add_nc_u16 v6, v6, v7
	v_and_b32_e32 v7, 0xff, v6
	s_delay_alu instid0(VALU_DEP_1) | instskip(NEXT) | instid1(VALU_DEP_1)
	v_mov_b32_dpp v7, v7 quad_perm:[2,3,0,1] row_mask:0xf bank_mask:0xf
	v_add_nc_u16 v6, v6, v7
	s_delay_alu instid0(VALU_DEP_1) | instskip(NEXT) | instid1(VALU_DEP_1)
	v_and_b32_e32 v7, 0xff, v6
	v_mov_b32_dpp v7, v7 row_ror:4 row_mask:0xf bank_mask:0xf
	s_delay_alu instid0(VALU_DEP_1) | instskip(NEXT) | instid1(VALU_DEP_1)
	v_add_nc_u16 v6, v6, v7
	v_and_b32_e32 v7, 0xff, v6
	s_delay_alu instid0(VALU_DEP_1) | instskip(NEXT) | instid1(VALU_DEP_1)
	v_mov_b32_dpp v7, v7 row_ror:8 row_mask:0xf bank_mask:0xf
	v_add_nc_u16 v6, v6, v7
	s_delay_alu instid0(VALU_DEP_1) | instskip(SKIP_3) | instid1(VALU_DEP_1)
	v_and_b32_e32 v7, 0xff, v6
	ds_swizzle_b32 v7, v7 offset:swizzle(BROADCAST,32,15)
	s_waitcnt lgkmcnt(0)
	v_add_nc_u16 v6, v6, v7
	v_and_b32_e32 v6, 0xff, v6
	ds_bpermute_b32 v6, v1, v6
	s_and_saveexec_b32 s4, vcc_lo
	s_cbranch_execz .LBB22_4
; %bb.3:                                ;   in Loop: Header=BB22_2 Depth=1
	s_waitcnt lgkmcnt(0)
	ds_store_b8 v3, v6
.LBB22_4:                               ;   in Loop: Header=BB22_2 Depth=1
	s_or_b32 exec_lo, exec_lo, s4
	s_waitcnt lgkmcnt(0)
	s_barrier
	buffer_gl0_inv
	s_and_saveexec_b32 s4, s0
	s_cbranch_execz .LBB22_1
; %bb.5:                                ;   in Loop: Header=BB22_2 Depth=1
	ds_load_u8 v6, v4
	s_waitcnt lgkmcnt(0)
	v_and_b32_e32 v7, 0xff, v6
	ds_bpermute_b32 v7, v5, v7
	s_waitcnt lgkmcnt(0)
	v_add_nc_u16 v6, v6, v7
	s_branch .LBB22_1
.LBB22_6:
	s_mov_b32 s0, exec_lo
	v_cmpx_eq_u32_e32 0, v0
	s_cbranch_execz .LBB22_8
; %bb.7:
	v_mov_b32_e32 v0, s15
	global_store_b8 v0, v6, s[2:3]
.LBB22_8:
	s_nop 0
	s_sendmsg sendmsg(MSG_DEALLOC_VGPRS)
	s_endpgm
	.section	.rodata,"a",@progbits
	.p2align	6, 0x0
	.amdhsa_kernel _Z6kernelI6reduceILN6hipcub20BlockReduceAlgorithmE0EEaLj64ELj2ELj100EEvPKT0_PS4_
		.amdhsa_group_segment_fixed_size 2
		.amdhsa_private_segment_fixed_size 0
		.amdhsa_kernarg_size 272
		.amdhsa_user_sgpr_count 15
		.amdhsa_user_sgpr_dispatch_ptr 0
		.amdhsa_user_sgpr_queue_ptr 0
		.amdhsa_user_sgpr_kernarg_segment_ptr 1
		.amdhsa_user_sgpr_dispatch_id 0
		.amdhsa_user_sgpr_private_segment_size 0
		.amdhsa_wavefront_size32 1
		.amdhsa_uses_dynamic_stack 0
		.amdhsa_enable_private_segment 0
		.amdhsa_system_sgpr_workgroup_id_x 1
		.amdhsa_system_sgpr_workgroup_id_y 0
		.amdhsa_system_sgpr_workgroup_id_z 0
		.amdhsa_system_sgpr_workgroup_info 0
		.amdhsa_system_vgpr_workitem_id 0
		.amdhsa_next_free_vgpr 8
		.amdhsa_next_free_sgpr 16
		.amdhsa_reserve_vcc 1
		.amdhsa_float_round_mode_32 0
		.amdhsa_float_round_mode_16_64 0
		.amdhsa_float_denorm_mode_32 3
		.amdhsa_float_denorm_mode_16_64 3
		.amdhsa_dx10_clamp 1
		.amdhsa_ieee_mode 1
		.amdhsa_fp16_overflow 0
		.amdhsa_workgroup_processor_mode 1
		.amdhsa_memory_ordered 1
		.amdhsa_forward_progress 0
		.amdhsa_shared_vgpr_count 0
		.amdhsa_exception_fp_ieee_invalid_op 0
		.amdhsa_exception_fp_denorm_src 0
		.amdhsa_exception_fp_ieee_div_zero 0
		.amdhsa_exception_fp_ieee_overflow 0
		.amdhsa_exception_fp_ieee_underflow 0
		.amdhsa_exception_fp_ieee_inexact 0
		.amdhsa_exception_int_div_zero 0
	.end_amdhsa_kernel
	.section	.text._Z6kernelI6reduceILN6hipcub20BlockReduceAlgorithmE0EEaLj64ELj2ELj100EEvPKT0_PS4_,"axG",@progbits,_Z6kernelI6reduceILN6hipcub20BlockReduceAlgorithmE0EEaLj64ELj2ELj100EEvPKT0_PS4_,comdat
.Lfunc_end22:
	.size	_Z6kernelI6reduceILN6hipcub20BlockReduceAlgorithmE0EEaLj64ELj2ELj100EEvPKT0_PS4_, .Lfunc_end22-_Z6kernelI6reduceILN6hipcub20BlockReduceAlgorithmE0EEaLj64ELj2ELj100EEvPKT0_PS4_
                                        ; -- End function
	.section	.AMDGPU.csdata,"",@progbits
; Kernel info:
; codeLenInByte = 484
; NumSgprs: 18
; NumVgprs: 8
; ScratchSize: 0
; MemoryBound: 0
; FloatMode: 240
; IeeeMode: 1
; LDSByteSize: 2 bytes/workgroup (compile time only)
; SGPRBlocks: 2
; VGPRBlocks: 0
; NumSGPRsForWavesPerEU: 18
; NumVGPRsForWavesPerEU: 8
; Occupancy: 16
; WaveLimiterHint : 0
; COMPUTE_PGM_RSRC2:SCRATCH_EN: 0
; COMPUTE_PGM_RSRC2:USER_SGPR: 15
; COMPUTE_PGM_RSRC2:TRAP_HANDLER: 0
; COMPUTE_PGM_RSRC2:TGID_X_EN: 1
; COMPUTE_PGM_RSRC2:TGID_Y_EN: 0
; COMPUTE_PGM_RSRC2:TGID_Z_EN: 0
; COMPUTE_PGM_RSRC2:TIDIG_COMP_CNT: 0
	.section	.text._Z6kernelI6reduceILN6hipcub20BlockReduceAlgorithmE0EEaLj64ELj3ELj100EEvPKT0_PS4_,"axG",@progbits,_Z6kernelI6reduceILN6hipcub20BlockReduceAlgorithmE0EEaLj64ELj3ELj100EEvPKT0_PS4_,comdat
	.protected	_Z6kernelI6reduceILN6hipcub20BlockReduceAlgorithmE0EEaLj64ELj3ELj100EEvPKT0_PS4_ ; -- Begin function _Z6kernelI6reduceILN6hipcub20BlockReduceAlgorithmE0EEaLj64ELj3ELj100EEvPKT0_PS4_
	.globl	_Z6kernelI6reduceILN6hipcub20BlockReduceAlgorithmE0EEaLj64ELj3ELj100EEvPKT0_PS4_
	.p2align	8
	.type	_Z6kernelI6reduceILN6hipcub20BlockReduceAlgorithmE0EEaLj64ELj3ELj100EEvPKT0_PS4_,@function
_Z6kernelI6reduceILN6hipcub20BlockReduceAlgorithmE0EEaLj64ELj3ELj100EEvPKT0_PS4_: ; @_Z6kernelI6reduceILN6hipcub20BlockReduceAlgorithmE0EEaLj64ELj3ELj100EEvPKT0_PS4_
; %bb.0:
	s_clause 0x1
	s_load_b32 s4, s[0:1], 0x1c
	s_load_b128 s[0:3], s[0:1], 0x0
	v_mbcnt_lo_u32_b32 v5, -1, 0
	s_delay_alu instid0(VALU_DEP_1) | instskip(SKIP_2) | instid1(SALU_CYCLE_1)
	v_cmp_eq_u32_e32 vcc_lo, 0, v5
	s_waitcnt lgkmcnt(0)
	s_and_b32 s4, s4, 0xffff
	v_mad_u64_u32 v[1:2], null, s15, s4, v[0:1]
	s_delay_alu instid0(VALU_DEP_1) | instskip(NEXT) | instid1(VALU_DEP_1)
	v_lshl_add_u32 v1, v1, 1, v1
	v_add_nc_u32_e32 v2, 1, v1
	s_clause 0x1
	global_load_u8 v2, v2, s[0:1]
	global_load_u8 v3, v1, s[0:1]
	v_add_nc_u32_e32 v1, 2, v1
	global_load_u8 v4, v1, s[0:1]
	v_cmp_gt_u32_e64 s0, 32, v0
	s_movk_i32 s1, 0x64
	s_waitcnt vmcnt(2)
	v_lshlrev_b16 v1, 8, v2
	s_waitcnt vmcnt(1)
	s_delay_alu instid0(VALU_DEP_1) | instskip(SKIP_3) | instid1(VALU_DEP_4)
	v_or_b32_e32 v2, v3, v1
	v_mov_b32_e32 v1, 0x7c
	v_and_b32_e32 v3, 1, v5
	v_lshl_or_b32 v5, v5, 2, 4
	v_and_b32_e32 v6, 0xffff, v2
	v_lshrrev_b32_e32 v2, 5, v0
	s_waitcnt vmcnt(0)
	s_delay_alu instid0(VALU_DEP_2)
	v_lshl_or_b32 v4, v4, 16, v6
	s_branch .LBB23_2
.LBB23_1:                               ;   in Loop: Header=BB23_2 Depth=1
	s_or_b32 exec_lo, exec_lo, s4
	s_delay_alu instid0(VALU_DEP_1) | instskip(SKIP_2) | instid1(SALU_CYCLE_1)
	v_and_b32_e32 v8, 0xff, v7
	v_lshlrev_b16 v6, 8, v6
	s_add_i32 s1, s1, -1
	s_cmp_eq_u32 s1, 0
	s_delay_alu instid0(VALU_DEP_1) | instskip(NEXT) | instid1(VALU_DEP_1)
	v_or_b32_e32 v6, v8, v6
	v_and_b32_e32 v6, 0xffff, v6
	s_delay_alu instid0(VALU_DEP_1)
	v_and_or_b32 v4, 0xff0000, v4, v6
	s_cbranch_scc1 .LBB23_6
.LBB23_2:                               ; =>This Inner Loop Header: Depth=1
	s_delay_alu instid0(VALU_DEP_1) | instskip(SKIP_1) | instid1(VALU_DEP_2)
	v_lshrrev_b32_e32 v6, 8, v4
	v_lshrrev_b32_e32 v7, 16, v4
	v_add_nc_u16 v8, v6, v4
	s_delay_alu instid0(VALU_DEP_1) | instskip(NEXT) | instid1(VALU_DEP_1)
	v_add_nc_u16 v7, v8, v7
	v_and_b32_e32 v8, 0xff, v7
	s_delay_alu instid0(VALU_DEP_1) | instskip(NEXT) | instid1(VALU_DEP_1)
	v_mov_b32_dpp v8, v8 quad_perm:[1,0,3,2] row_mask:0xf bank_mask:0xf
	v_add_nc_u16 v7, v7, v8
	s_delay_alu instid0(VALU_DEP_1) | instskip(NEXT) | instid1(VALU_DEP_1)
	v_and_b32_e32 v8, 0xff, v7
	v_mov_b32_dpp v8, v8 quad_perm:[2,3,0,1] row_mask:0xf bank_mask:0xf
	s_delay_alu instid0(VALU_DEP_1) | instskip(NEXT) | instid1(VALU_DEP_1)
	v_add_nc_u16 v7, v7, v8
	v_and_b32_e32 v8, 0xff, v7
	s_delay_alu instid0(VALU_DEP_1) | instskip(NEXT) | instid1(VALU_DEP_1)
	v_mov_b32_dpp v8, v8 row_ror:4 row_mask:0xf bank_mask:0xf
	v_add_nc_u16 v7, v7, v8
	s_delay_alu instid0(VALU_DEP_1) | instskip(NEXT) | instid1(VALU_DEP_1)
	v_and_b32_e32 v8, 0xff, v7
	v_mov_b32_dpp v8, v8 row_ror:8 row_mask:0xf bank_mask:0xf
	s_delay_alu instid0(VALU_DEP_1) | instskip(NEXT) | instid1(VALU_DEP_1)
	v_add_nc_u16 v7, v7, v8
	v_and_b32_e32 v8, 0xff, v7
	ds_swizzle_b32 v8, v8 offset:swizzle(BROADCAST,32,15)
	s_waitcnt lgkmcnt(0)
	v_add_nc_u16 v7, v7, v8
	s_delay_alu instid0(VALU_DEP_1)
	v_and_b32_e32 v7, 0xff, v7
	ds_bpermute_b32 v7, v1, v7
	s_and_saveexec_b32 s4, vcc_lo
	s_cbranch_execz .LBB23_4
; %bb.3:                                ;   in Loop: Header=BB23_2 Depth=1
	s_waitcnt lgkmcnt(0)
	ds_store_b8 v2, v7
.LBB23_4:                               ;   in Loop: Header=BB23_2 Depth=1
	s_or_b32 exec_lo, exec_lo, s4
	s_waitcnt lgkmcnt(0)
	s_barrier
	buffer_gl0_inv
	s_and_saveexec_b32 s4, s0
	s_cbranch_execz .LBB23_1
; %bb.5:                                ;   in Loop: Header=BB23_2 Depth=1
	ds_load_u8 v7, v3
	s_waitcnt lgkmcnt(0)
	v_and_b32_e32 v8, 0xff, v7
	ds_bpermute_b32 v8, v5, v8
	s_waitcnt lgkmcnt(0)
	v_add_nc_u16 v7, v7, v8
	s_branch .LBB23_1
.LBB23_6:
	s_mov_b32 s0, exec_lo
	v_cmpx_eq_u32_e32 0, v0
	s_cbranch_execz .LBB23_8
; %bb.7:
	v_mov_b32_e32 v0, s15
	global_store_b8 v0, v7, s[2:3]
.LBB23_8:
	s_nop 0
	s_sendmsg sendmsg(MSG_DEALLOC_VGPRS)
	s_endpgm
	.section	.rodata,"a",@progbits
	.p2align	6, 0x0
	.amdhsa_kernel _Z6kernelI6reduceILN6hipcub20BlockReduceAlgorithmE0EEaLj64ELj3ELj100EEvPKT0_PS4_
		.amdhsa_group_segment_fixed_size 2
		.amdhsa_private_segment_fixed_size 0
		.amdhsa_kernarg_size 272
		.amdhsa_user_sgpr_count 15
		.amdhsa_user_sgpr_dispatch_ptr 0
		.amdhsa_user_sgpr_queue_ptr 0
		.amdhsa_user_sgpr_kernarg_segment_ptr 1
		.amdhsa_user_sgpr_dispatch_id 0
		.amdhsa_user_sgpr_private_segment_size 0
		.amdhsa_wavefront_size32 1
		.amdhsa_uses_dynamic_stack 0
		.amdhsa_enable_private_segment 0
		.amdhsa_system_sgpr_workgroup_id_x 1
		.amdhsa_system_sgpr_workgroup_id_y 0
		.amdhsa_system_sgpr_workgroup_id_z 0
		.amdhsa_system_sgpr_workgroup_info 0
		.amdhsa_system_vgpr_workitem_id 0
		.amdhsa_next_free_vgpr 9
		.amdhsa_next_free_sgpr 16
		.amdhsa_reserve_vcc 1
		.amdhsa_float_round_mode_32 0
		.amdhsa_float_round_mode_16_64 0
		.amdhsa_float_denorm_mode_32 3
		.amdhsa_float_denorm_mode_16_64 3
		.amdhsa_dx10_clamp 1
		.amdhsa_ieee_mode 1
		.amdhsa_fp16_overflow 0
		.amdhsa_workgroup_processor_mode 1
		.amdhsa_memory_ordered 1
		.amdhsa_forward_progress 0
		.amdhsa_shared_vgpr_count 0
		.amdhsa_exception_fp_ieee_invalid_op 0
		.amdhsa_exception_fp_denorm_src 0
		.amdhsa_exception_fp_ieee_div_zero 0
		.amdhsa_exception_fp_ieee_overflow 0
		.amdhsa_exception_fp_ieee_underflow 0
		.amdhsa_exception_fp_ieee_inexact 0
		.amdhsa_exception_int_div_zero 0
	.end_amdhsa_kernel
	.section	.text._Z6kernelI6reduceILN6hipcub20BlockReduceAlgorithmE0EEaLj64ELj3ELj100EEvPKT0_PS4_,"axG",@progbits,_Z6kernelI6reduceILN6hipcub20BlockReduceAlgorithmE0EEaLj64ELj3ELj100EEvPKT0_PS4_,comdat
.Lfunc_end23:
	.size	_Z6kernelI6reduceILN6hipcub20BlockReduceAlgorithmE0EEaLj64ELj3ELj100EEvPKT0_PS4_, .Lfunc_end23-_Z6kernelI6reduceILN6hipcub20BlockReduceAlgorithmE0EEaLj64ELj3ELj100EEvPKT0_PS4_
                                        ; -- End function
	.section	.AMDGPU.csdata,"",@progbits
; Kernel info:
; codeLenInByte = 588
; NumSgprs: 18
; NumVgprs: 9
; ScratchSize: 0
; MemoryBound: 0
; FloatMode: 240
; IeeeMode: 1
; LDSByteSize: 2 bytes/workgroup (compile time only)
; SGPRBlocks: 2
; VGPRBlocks: 1
; NumSGPRsForWavesPerEU: 18
; NumVGPRsForWavesPerEU: 9
; Occupancy: 16
; WaveLimiterHint : 0
; COMPUTE_PGM_RSRC2:SCRATCH_EN: 0
; COMPUTE_PGM_RSRC2:USER_SGPR: 15
; COMPUTE_PGM_RSRC2:TRAP_HANDLER: 0
; COMPUTE_PGM_RSRC2:TGID_X_EN: 1
; COMPUTE_PGM_RSRC2:TGID_Y_EN: 0
; COMPUTE_PGM_RSRC2:TGID_Z_EN: 0
; COMPUTE_PGM_RSRC2:TIDIG_COMP_CNT: 0
	.section	.text._Z6kernelI6reduceILN6hipcub20BlockReduceAlgorithmE0EEaLj64ELj4ELj100EEvPKT0_PS4_,"axG",@progbits,_Z6kernelI6reduceILN6hipcub20BlockReduceAlgorithmE0EEaLj64ELj4ELj100EEvPKT0_PS4_,comdat
	.protected	_Z6kernelI6reduceILN6hipcub20BlockReduceAlgorithmE0EEaLj64ELj4ELj100EEvPKT0_PS4_ ; -- Begin function _Z6kernelI6reduceILN6hipcub20BlockReduceAlgorithmE0EEaLj64ELj4ELj100EEvPKT0_PS4_
	.globl	_Z6kernelI6reduceILN6hipcub20BlockReduceAlgorithmE0EEaLj64ELj4ELj100EEvPKT0_PS4_
	.p2align	8
	.type	_Z6kernelI6reduceILN6hipcub20BlockReduceAlgorithmE0EEaLj64ELj4ELj100EEvPKT0_PS4_,@function
_Z6kernelI6reduceILN6hipcub20BlockReduceAlgorithmE0EEaLj64ELj4ELj100EEvPKT0_PS4_: ; @_Z6kernelI6reduceILN6hipcub20BlockReduceAlgorithmE0EEaLj64ELj4ELj100EEvPKT0_PS4_
; %bb.0:
	s_clause 0x1
	s_load_b32 s4, s[0:1], 0x1c
	s_load_b128 s[0:3], s[0:1], 0x0
	v_mbcnt_lo_u32_b32 v5, -1, 0
	v_mov_b32_e32 v2, 0x7c
	v_lshrrev_b32_e32 v3, 5, v0
	s_delay_alu instid0(VALU_DEP_3) | instskip(SKIP_4) | instid1(SALU_CYCLE_1)
	v_cmp_eq_u32_e32 vcc_lo, 0, v5
	v_and_b32_e32 v4, 1, v5
	v_lshl_or_b32 v5, v5, 2, 4
	s_waitcnt lgkmcnt(0)
	s_and_b32 s4, s4, 0xffff
	s_mul_i32 s4, s15, s4
	s_delay_alu instid0(SALU_CYCLE_1)
	v_add_lshl_u32 v1, s4, v0, 2
	global_load_b32 v1, v1, s[0:1]
	v_cmp_gt_u32_e64 s0, 32, v0
	s_movk_i32 s1, 0x64
	s_branch .LBB24_2
.LBB24_1:                               ;   in Loop: Header=BB24_2 Depth=1
	s_or_b32 exec_lo, exec_lo, s4
	s_delay_alu instid0(VALU_DEP_1) | instskip(SKIP_1) | instid1(SALU_CYCLE_1)
	v_perm_b32 v1, v6, v1, 0x3020104
	s_add_i32 s1, s1, -1
	s_cmp_eq_u32 s1, 0
	s_cbranch_scc1 .LBB24_6
.LBB24_2:                               ; =>This Inner Loop Header: Depth=1
	s_waitcnt vmcnt(0)
	v_lshrrev_b32_e32 v6, 8, v1
	v_lshrrev_b32_e32 v7, 16, v1
	s_delay_alu instid0(VALU_DEP_2) | instskip(NEXT) | instid1(VALU_DEP_1)
	v_add_nc_u16 v6, v6, v1
	v_add_nc_u16 v6, v6, v7
	v_lshrrev_b32_e32 v7, 24, v1
	s_delay_alu instid0(VALU_DEP_1) | instskip(NEXT) | instid1(VALU_DEP_1)
	v_add_nc_u16 v6, v6, v7
	v_and_b32_e32 v7, 0xff, v6
	s_delay_alu instid0(VALU_DEP_1) | instskip(NEXT) | instid1(VALU_DEP_1)
	v_mov_b32_dpp v7, v7 quad_perm:[1,0,3,2] row_mask:0xf bank_mask:0xf
	v_add_nc_u16 v6, v6, v7
	s_delay_alu instid0(VALU_DEP_1) | instskip(NEXT) | instid1(VALU_DEP_1)
	v_and_b32_e32 v7, 0xff, v6
	v_mov_b32_dpp v7, v7 quad_perm:[2,3,0,1] row_mask:0xf bank_mask:0xf
	s_delay_alu instid0(VALU_DEP_1) | instskip(NEXT) | instid1(VALU_DEP_1)
	v_add_nc_u16 v6, v6, v7
	v_and_b32_e32 v7, 0xff, v6
	s_delay_alu instid0(VALU_DEP_1) | instskip(NEXT) | instid1(VALU_DEP_1)
	v_mov_b32_dpp v7, v7 row_ror:4 row_mask:0xf bank_mask:0xf
	v_add_nc_u16 v6, v6, v7
	s_delay_alu instid0(VALU_DEP_1) | instskip(NEXT) | instid1(VALU_DEP_1)
	v_and_b32_e32 v7, 0xff, v6
	v_mov_b32_dpp v7, v7 row_ror:8 row_mask:0xf bank_mask:0xf
	s_delay_alu instid0(VALU_DEP_1) | instskip(NEXT) | instid1(VALU_DEP_1)
	v_add_nc_u16 v6, v6, v7
	v_and_b32_e32 v7, 0xff, v6
	ds_swizzle_b32 v7, v7 offset:swizzle(BROADCAST,32,15)
	s_waitcnt lgkmcnt(0)
	v_add_nc_u16 v6, v6, v7
	s_delay_alu instid0(VALU_DEP_1)
	v_and_b32_e32 v6, 0xff, v6
	ds_bpermute_b32 v6, v2, v6
	s_and_saveexec_b32 s4, vcc_lo
	s_cbranch_execz .LBB24_4
; %bb.3:                                ;   in Loop: Header=BB24_2 Depth=1
	s_waitcnt lgkmcnt(0)
	ds_store_b8 v3, v6
.LBB24_4:                               ;   in Loop: Header=BB24_2 Depth=1
	s_or_b32 exec_lo, exec_lo, s4
	s_waitcnt lgkmcnt(0)
	s_barrier
	buffer_gl0_inv
	s_and_saveexec_b32 s4, s0
	s_cbranch_execz .LBB24_1
; %bb.5:                                ;   in Loop: Header=BB24_2 Depth=1
	ds_load_u8 v6, v4
	s_waitcnt lgkmcnt(0)
	v_and_b32_e32 v7, 0xff, v6
	ds_bpermute_b32 v7, v5, v7
	s_waitcnt lgkmcnt(0)
	v_add_nc_u16 v6, v6, v7
	s_branch .LBB24_1
.LBB24_6:
	s_mov_b32 s0, exec_lo
	v_cmpx_eq_u32_e32 0, v0
	s_cbranch_execz .LBB24_8
; %bb.7:
	v_mov_b32_e32 v0, s15
	global_store_b8 v0, v6, s[2:3]
.LBB24_8:
	s_nop 0
	s_sendmsg sendmsg(MSG_DEALLOC_VGPRS)
	s_endpgm
	.section	.rodata,"a",@progbits
	.p2align	6, 0x0
	.amdhsa_kernel _Z6kernelI6reduceILN6hipcub20BlockReduceAlgorithmE0EEaLj64ELj4ELj100EEvPKT0_PS4_
		.amdhsa_group_segment_fixed_size 2
		.amdhsa_private_segment_fixed_size 0
		.amdhsa_kernarg_size 272
		.amdhsa_user_sgpr_count 15
		.amdhsa_user_sgpr_dispatch_ptr 0
		.amdhsa_user_sgpr_queue_ptr 0
		.amdhsa_user_sgpr_kernarg_segment_ptr 1
		.amdhsa_user_sgpr_dispatch_id 0
		.amdhsa_user_sgpr_private_segment_size 0
		.amdhsa_wavefront_size32 1
		.amdhsa_uses_dynamic_stack 0
		.amdhsa_enable_private_segment 0
		.amdhsa_system_sgpr_workgroup_id_x 1
		.amdhsa_system_sgpr_workgroup_id_y 0
		.amdhsa_system_sgpr_workgroup_id_z 0
		.amdhsa_system_sgpr_workgroup_info 0
		.amdhsa_system_vgpr_workitem_id 0
		.amdhsa_next_free_vgpr 8
		.amdhsa_next_free_sgpr 16
		.amdhsa_reserve_vcc 1
		.amdhsa_float_round_mode_32 0
		.amdhsa_float_round_mode_16_64 0
		.amdhsa_float_denorm_mode_32 3
		.amdhsa_float_denorm_mode_16_64 3
		.amdhsa_dx10_clamp 1
		.amdhsa_ieee_mode 1
		.amdhsa_fp16_overflow 0
		.amdhsa_workgroup_processor_mode 1
		.amdhsa_memory_ordered 1
		.amdhsa_forward_progress 0
		.amdhsa_shared_vgpr_count 0
		.amdhsa_exception_fp_ieee_invalid_op 0
		.amdhsa_exception_fp_denorm_src 0
		.amdhsa_exception_fp_ieee_div_zero 0
		.amdhsa_exception_fp_ieee_overflow 0
		.amdhsa_exception_fp_ieee_underflow 0
		.amdhsa_exception_fp_ieee_inexact 0
		.amdhsa_exception_int_div_zero 0
	.end_amdhsa_kernel
	.section	.text._Z6kernelI6reduceILN6hipcub20BlockReduceAlgorithmE0EEaLj64ELj4ELj100EEvPKT0_PS4_,"axG",@progbits,_Z6kernelI6reduceILN6hipcub20BlockReduceAlgorithmE0EEaLj64ELj4ELj100EEvPKT0_PS4_,comdat
.Lfunc_end24:
	.size	_Z6kernelI6reduceILN6hipcub20BlockReduceAlgorithmE0EEaLj64ELj4ELj100EEvPKT0_PS4_, .Lfunc_end24-_Z6kernelI6reduceILN6hipcub20BlockReduceAlgorithmE0EEaLj64ELj4ELj100EEvPKT0_PS4_
                                        ; -- End function
	.section	.AMDGPU.csdata,"",@progbits
; Kernel info:
; codeLenInByte = 488
; NumSgprs: 18
; NumVgprs: 8
; ScratchSize: 0
; MemoryBound: 0
; FloatMode: 240
; IeeeMode: 1
; LDSByteSize: 2 bytes/workgroup (compile time only)
; SGPRBlocks: 2
; VGPRBlocks: 0
; NumSGPRsForWavesPerEU: 18
; NumVGPRsForWavesPerEU: 8
; Occupancy: 16
; WaveLimiterHint : 0
; COMPUTE_PGM_RSRC2:SCRATCH_EN: 0
; COMPUTE_PGM_RSRC2:USER_SGPR: 15
; COMPUTE_PGM_RSRC2:TRAP_HANDLER: 0
; COMPUTE_PGM_RSRC2:TGID_X_EN: 1
; COMPUTE_PGM_RSRC2:TGID_Y_EN: 0
; COMPUTE_PGM_RSRC2:TGID_Z_EN: 0
; COMPUTE_PGM_RSRC2:TIDIG_COMP_CNT: 0
	.section	.text._Z6kernelI6reduceILN6hipcub20BlockReduceAlgorithmE0EEaLj64ELj8ELj100EEvPKT0_PS4_,"axG",@progbits,_Z6kernelI6reduceILN6hipcub20BlockReduceAlgorithmE0EEaLj64ELj8ELj100EEvPKT0_PS4_,comdat
	.protected	_Z6kernelI6reduceILN6hipcub20BlockReduceAlgorithmE0EEaLj64ELj8ELj100EEvPKT0_PS4_ ; -- Begin function _Z6kernelI6reduceILN6hipcub20BlockReduceAlgorithmE0EEaLj64ELj8ELj100EEvPKT0_PS4_
	.globl	_Z6kernelI6reduceILN6hipcub20BlockReduceAlgorithmE0EEaLj64ELj8ELj100EEvPKT0_PS4_
	.p2align	8
	.type	_Z6kernelI6reduceILN6hipcub20BlockReduceAlgorithmE0EEaLj64ELj8ELj100EEvPKT0_PS4_,@function
_Z6kernelI6reduceILN6hipcub20BlockReduceAlgorithmE0EEaLj64ELj8ELj100EEvPKT0_PS4_: ; @_Z6kernelI6reduceILN6hipcub20BlockReduceAlgorithmE0EEaLj64ELj8ELj100EEvPKT0_PS4_
; %bb.0:
	s_clause 0x1
	s_load_b32 s4, s[0:1], 0x1c
	s_load_b128 s[0:3], s[0:1], 0x0
	v_mbcnt_lo_u32_b32 v6, -1, 0
	v_mov_b32_e32 v3, 0x7c
	v_lshrrev_b32_e32 v4, 5, v0
	s_delay_alu instid0(VALU_DEP_3) | instskip(SKIP_4) | instid1(SALU_CYCLE_1)
	v_cmp_eq_u32_e32 vcc_lo, 0, v6
	v_and_b32_e32 v5, 1, v6
	v_lshl_or_b32 v6, v6, 2, 4
	s_waitcnt lgkmcnt(0)
	s_and_b32 s4, s4, 0xffff
	s_mul_i32 s4, s15, s4
	s_delay_alu instid0(SALU_CYCLE_1)
	v_add_lshl_u32 v1, s4, v0, 3
	global_load_b64 v[1:2], v1, s[0:1]
	v_cmp_gt_u32_e64 s0, 32, v0
	s_movk_i32 s1, 0x64
	s_branch .LBB25_2
.LBB25_1:                               ;   in Loop: Header=BB25_2 Depth=1
	s_or_b32 exec_lo, exec_lo, s4
	s_delay_alu instid0(VALU_DEP_1) | instskip(SKIP_1) | instid1(SALU_CYCLE_1)
	v_perm_b32 v1, v7, v1, 0x3020104
	s_add_i32 s1, s1, -1
	s_cmp_eq_u32 s1, 0
	s_cbranch_scc1 .LBB25_6
.LBB25_2:                               ; =>This Inner Loop Header: Depth=1
	s_waitcnt vmcnt(0)
	v_lshrrev_b32_e32 v7, 8, v1
	v_lshrrev_b32_e32 v8, 16, v1
	v_lshrrev_b32_e32 v9, 24, v1
	s_delay_alu instid0(VALU_DEP_3) | instskip(NEXT) | instid1(VALU_DEP_1)
	v_add_nc_u16 v7, v7, v1
	v_add_nc_u16 v7, v7, v8
	v_lshrrev_b32_e32 v8, 8, v2
	s_delay_alu instid0(VALU_DEP_2) | instskip(SKIP_1) | instid1(VALU_DEP_2)
	v_add_nc_u16 v7, v7, v9
	v_lshrrev_b32_e32 v9, 16, v2
	v_add_nc_u16 v7, v7, v2
	s_delay_alu instid0(VALU_DEP_1) | instskip(SKIP_1) | instid1(VALU_DEP_2)
	v_add_nc_u16 v7, v7, v8
	v_lshrrev_b32_e32 v8, 24, v2
	v_add_nc_u16 v7, v7, v9
	s_delay_alu instid0(VALU_DEP_1) | instskip(NEXT) | instid1(VALU_DEP_1)
	v_add_nc_u16 v7, v7, v8
	v_and_b32_e32 v8, 0xff, v7
	s_delay_alu instid0(VALU_DEP_1) | instskip(NEXT) | instid1(VALU_DEP_1)
	v_mov_b32_dpp v8, v8 quad_perm:[1,0,3,2] row_mask:0xf bank_mask:0xf
	v_add_nc_u16 v7, v7, v8
	s_delay_alu instid0(VALU_DEP_1) | instskip(NEXT) | instid1(VALU_DEP_1)
	v_and_b32_e32 v8, 0xff, v7
	v_mov_b32_dpp v8, v8 quad_perm:[2,3,0,1] row_mask:0xf bank_mask:0xf
	s_delay_alu instid0(VALU_DEP_1) | instskip(NEXT) | instid1(VALU_DEP_1)
	v_add_nc_u16 v7, v7, v8
	v_and_b32_e32 v8, 0xff, v7
	s_delay_alu instid0(VALU_DEP_1) | instskip(NEXT) | instid1(VALU_DEP_1)
	v_mov_b32_dpp v8, v8 row_ror:4 row_mask:0xf bank_mask:0xf
	v_add_nc_u16 v7, v7, v8
	s_delay_alu instid0(VALU_DEP_1) | instskip(NEXT) | instid1(VALU_DEP_1)
	v_and_b32_e32 v8, 0xff, v7
	v_mov_b32_dpp v8, v8 row_ror:8 row_mask:0xf bank_mask:0xf
	s_delay_alu instid0(VALU_DEP_1) | instskip(NEXT) | instid1(VALU_DEP_1)
	v_add_nc_u16 v7, v7, v8
	v_and_b32_e32 v8, 0xff, v7
	ds_swizzle_b32 v8, v8 offset:swizzle(BROADCAST,32,15)
	s_waitcnt lgkmcnt(0)
	v_add_nc_u16 v7, v7, v8
	s_delay_alu instid0(VALU_DEP_1)
	v_and_b32_e32 v7, 0xff, v7
	ds_bpermute_b32 v7, v3, v7
	s_and_saveexec_b32 s4, vcc_lo
	s_cbranch_execz .LBB25_4
; %bb.3:                                ;   in Loop: Header=BB25_2 Depth=1
	s_waitcnt lgkmcnt(0)
	ds_store_b8 v4, v7
.LBB25_4:                               ;   in Loop: Header=BB25_2 Depth=1
	s_or_b32 exec_lo, exec_lo, s4
	s_waitcnt lgkmcnt(0)
	s_barrier
	buffer_gl0_inv
	s_and_saveexec_b32 s4, s0
	s_cbranch_execz .LBB25_1
; %bb.5:                                ;   in Loop: Header=BB25_2 Depth=1
	ds_load_u8 v7, v5
	s_waitcnt lgkmcnt(0)
	v_and_b32_e32 v8, 0xff, v7
	ds_bpermute_b32 v8, v6, v8
	s_waitcnt lgkmcnt(0)
	v_add_nc_u16 v7, v7, v8
	s_branch .LBB25_1
.LBB25_6:
	s_mov_b32 s0, exec_lo
	v_cmpx_eq_u32_e32 0, v0
	s_cbranch_execz .LBB25_8
; %bb.7:
	v_mov_b32_e32 v0, s15
	global_store_b8 v0, v7, s[2:3]
.LBB25_8:
	s_nop 0
	s_sendmsg sendmsg(MSG_DEALLOC_VGPRS)
	s_endpgm
	.section	.rodata,"a",@progbits
	.p2align	6, 0x0
	.amdhsa_kernel _Z6kernelI6reduceILN6hipcub20BlockReduceAlgorithmE0EEaLj64ELj8ELj100EEvPKT0_PS4_
		.amdhsa_group_segment_fixed_size 2
		.amdhsa_private_segment_fixed_size 0
		.amdhsa_kernarg_size 272
		.amdhsa_user_sgpr_count 15
		.amdhsa_user_sgpr_dispatch_ptr 0
		.amdhsa_user_sgpr_queue_ptr 0
		.amdhsa_user_sgpr_kernarg_segment_ptr 1
		.amdhsa_user_sgpr_dispatch_id 0
		.amdhsa_user_sgpr_private_segment_size 0
		.amdhsa_wavefront_size32 1
		.amdhsa_uses_dynamic_stack 0
		.amdhsa_enable_private_segment 0
		.amdhsa_system_sgpr_workgroup_id_x 1
		.amdhsa_system_sgpr_workgroup_id_y 0
		.amdhsa_system_sgpr_workgroup_id_z 0
		.amdhsa_system_sgpr_workgroup_info 0
		.amdhsa_system_vgpr_workitem_id 0
		.amdhsa_next_free_vgpr 10
		.amdhsa_next_free_sgpr 16
		.amdhsa_reserve_vcc 1
		.amdhsa_float_round_mode_32 0
		.amdhsa_float_round_mode_16_64 0
		.amdhsa_float_denorm_mode_32 3
		.amdhsa_float_denorm_mode_16_64 3
		.amdhsa_dx10_clamp 1
		.amdhsa_ieee_mode 1
		.amdhsa_fp16_overflow 0
		.amdhsa_workgroup_processor_mode 1
		.amdhsa_memory_ordered 1
		.amdhsa_forward_progress 0
		.amdhsa_shared_vgpr_count 0
		.amdhsa_exception_fp_ieee_invalid_op 0
		.amdhsa_exception_fp_denorm_src 0
		.amdhsa_exception_fp_ieee_div_zero 0
		.amdhsa_exception_fp_ieee_overflow 0
		.amdhsa_exception_fp_ieee_underflow 0
		.amdhsa_exception_fp_ieee_inexact 0
		.amdhsa_exception_int_div_zero 0
	.end_amdhsa_kernel
	.section	.text._Z6kernelI6reduceILN6hipcub20BlockReduceAlgorithmE0EEaLj64ELj8ELj100EEvPKT0_PS4_,"axG",@progbits,_Z6kernelI6reduceILN6hipcub20BlockReduceAlgorithmE0EEaLj64ELj8ELj100EEvPKT0_PS4_,comdat
.Lfunc_end25:
	.size	_Z6kernelI6reduceILN6hipcub20BlockReduceAlgorithmE0EEaLj64ELj8ELj100EEvPKT0_PS4_, .Lfunc_end25-_Z6kernelI6reduceILN6hipcub20BlockReduceAlgorithmE0EEaLj64ELj8ELj100EEvPKT0_PS4_
                                        ; -- End function
	.section	.AMDGPU.csdata,"",@progbits
; Kernel info:
; codeLenInByte = 540
; NumSgprs: 18
; NumVgprs: 10
; ScratchSize: 0
; MemoryBound: 0
; FloatMode: 240
; IeeeMode: 1
; LDSByteSize: 2 bytes/workgroup (compile time only)
; SGPRBlocks: 2
; VGPRBlocks: 1
; NumSGPRsForWavesPerEU: 18
; NumVGPRsForWavesPerEU: 10
; Occupancy: 16
; WaveLimiterHint : 0
; COMPUTE_PGM_RSRC2:SCRATCH_EN: 0
; COMPUTE_PGM_RSRC2:USER_SGPR: 15
; COMPUTE_PGM_RSRC2:TRAP_HANDLER: 0
; COMPUTE_PGM_RSRC2:TGID_X_EN: 1
; COMPUTE_PGM_RSRC2:TGID_Y_EN: 0
; COMPUTE_PGM_RSRC2:TGID_Z_EN: 0
; COMPUTE_PGM_RSRC2:TIDIG_COMP_CNT: 0
	.section	.text._Z6kernelI6reduceILN6hipcub20BlockReduceAlgorithmE0EEaLj64ELj11ELj100EEvPKT0_PS4_,"axG",@progbits,_Z6kernelI6reduceILN6hipcub20BlockReduceAlgorithmE0EEaLj64ELj11ELj100EEvPKT0_PS4_,comdat
	.protected	_Z6kernelI6reduceILN6hipcub20BlockReduceAlgorithmE0EEaLj64ELj11ELj100EEvPKT0_PS4_ ; -- Begin function _Z6kernelI6reduceILN6hipcub20BlockReduceAlgorithmE0EEaLj64ELj11ELj100EEvPKT0_PS4_
	.globl	_Z6kernelI6reduceILN6hipcub20BlockReduceAlgorithmE0EEaLj64ELj11ELj100EEvPKT0_PS4_
	.p2align	8
	.type	_Z6kernelI6reduceILN6hipcub20BlockReduceAlgorithmE0EEaLj64ELj11ELj100EEvPKT0_PS4_,@function
_Z6kernelI6reduceILN6hipcub20BlockReduceAlgorithmE0EEaLj64ELj11ELj100EEvPKT0_PS4_: ; @_Z6kernelI6reduceILN6hipcub20BlockReduceAlgorithmE0EEaLj64ELj11ELj100EEvPKT0_PS4_
; %bb.0:
	s_load_b32 s2, s[0:1], 0x1c
	v_mbcnt_lo_u32_b32 v13, -1, 0
	s_delay_alu instid0(VALU_DEP_1) | instskip(SKIP_2) | instid1(SALU_CYCLE_1)
	v_cmp_eq_u32_e32 vcc_lo, 0, v13
	s_waitcnt lgkmcnt(0)
	s_and_b32 s2, s2, 0xffff
	v_mad_u64_u32 v[1:2], null, s15, s2, v[0:1]
	s_load_b128 s[0:3], s[0:1], 0x0
	s_delay_alu instid0(VALU_DEP_1) | instskip(NEXT) | instid1(VALU_DEP_1)
	v_mul_lo_u32 v1, v1, 11
	v_add_nc_u32_e32 v2, 1, v1
	v_add_nc_u32_e32 v4, 3, v1
	;; [unrolled: 1-line block ×7, first 2 shown]
	s_waitcnt lgkmcnt(0)
	s_clause 0x7
	global_load_u8 v9, v2, s[0:1]
	global_load_u8 v10, v4, s[0:1]
	;; [unrolled: 1-line block ×8, first 2 shown]
	v_add_nc_u32_e32 v2, 8, v1
	v_add_nc_u32_e32 v3, 9, v1
	;; [unrolled: 1-line block ×3, first 2 shown]
	s_clause 0x2
	global_load_u8 v1, v2, s[0:1]
	global_load_u8 v2, v3, s[0:1]
	;; [unrolled: 1-line block ×3, first 2 shown]
	v_mov_b32_e32 v4, 0x7c
	v_cmp_gt_u32_e64 s0, 32, v0
	s_movk_i32 s1, 0x64
	s_waitcnt vmcnt(10)
	v_lshlrev_b16 v9, 8, v9
	s_waitcnt vmcnt(9)
	v_lshlrev_b16 v10, 8, v10
	;; [unrolled: 2-line block ×4, first 2 shown]
	s_waitcnt vmcnt(6)
	v_or_b32_e32 v9, v11, v9
	s_waitcnt vmcnt(5)
	v_or_b32_e32 v10, v12, v10
	s_waitcnt vmcnt(4)
	v_or_b32_e32 v5, v5, v6
	s_waitcnt vmcnt(3)
	v_or_b32_e32 v6, v8, v7
	v_lshl_or_b32 v7, v13, 2, 4
	v_and_b32_e32 v8, 0xffff, v9
	v_lshlrev_b32_e32 v9, 16, v10
	v_and_b32_e32 v10, 0xffff, v5
	v_lshlrev_b32_e32 v11, 16, v6
	v_lshrrev_b32_e32 v5, 5, v0
	v_and_b32_e32 v6, 1, v13
	v_or_b32_e32 v8, v8, v9
	s_delay_alu instid0(VALU_DEP_4)
	v_or_b32_e32 v9, v10, v11
	s_branch .LBB26_2
.LBB26_1:                               ;   in Loop: Header=BB26_2 Depth=1
	s_or_b32 exec_lo, exec_lo, s4
	s_delay_alu instid0(VALU_DEP_1) | instskip(SKIP_1) | instid1(SALU_CYCLE_1)
	v_perm_b32 v8, v10, v8, 0x3020104
	s_add_i32 s1, s1, -1
	s_cmp_eq_u32 s1, 0
	s_cbranch_scc1 .LBB26_6
.LBB26_2:                               ; =>This Inner Loop Header: Depth=1
	s_delay_alu instid0(VALU_DEP_1) | instskip(SKIP_2) | instid1(VALU_DEP_3)
	v_lshrrev_b32_e32 v10, 8, v8
	v_lshrrev_b32_e32 v11, 16, v8
	;; [unrolled: 1-line block ×3, first 2 shown]
	v_add_nc_u16 v10, v10, v8
	s_delay_alu instid0(VALU_DEP_1) | instskip(SKIP_1) | instid1(VALU_DEP_2)
	v_add_nc_u16 v10, v10, v11
	v_lshrrev_b32_e32 v11, 8, v9
	v_add_nc_u16 v10, v10, v12
	v_lshrrev_b32_e32 v12, 16, v9
	s_delay_alu instid0(VALU_DEP_2) | instskip(NEXT) | instid1(VALU_DEP_1)
	v_add_nc_u16 v10, v10, v9
	v_add_nc_u16 v10, v10, v11
	v_lshrrev_b32_e32 v11, 24, v9
	s_delay_alu instid0(VALU_DEP_2) | instskip(NEXT) | instid1(VALU_DEP_1)
	v_add_nc_u16 v10, v10, v12
	v_add_nc_u16 v10, v10, v11
	s_waitcnt vmcnt(2)
	s_delay_alu instid0(VALU_DEP_1) | instskip(SKIP_1) | instid1(VALU_DEP_1)
	v_add_nc_u16 v10, v10, v1
	s_waitcnt vmcnt(1)
	v_add_nc_u16 v10, v10, v2
	s_waitcnt vmcnt(0)
	s_delay_alu instid0(VALU_DEP_1) | instskip(NEXT) | instid1(VALU_DEP_1)
	v_add_nc_u16 v10, v10, v3
	v_and_b32_e32 v11, 0xff, v10
	s_delay_alu instid0(VALU_DEP_1) | instskip(NEXT) | instid1(VALU_DEP_1)
	v_mov_b32_dpp v11, v11 quad_perm:[1,0,3,2] row_mask:0xf bank_mask:0xf
	v_add_nc_u16 v10, v10, v11
	s_delay_alu instid0(VALU_DEP_1) | instskip(NEXT) | instid1(VALU_DEP_1)
	v_and_b32_e32 v11, 0xff, v10
	v_mov_b32_dpp v11, v11 quad_perm:[2,3,0,1] row_mask:0xf bank_mask:0xf
	s_delay_alu instid0(VALU_DEP_1) | instskip(NEXT) | instid1(VALU_DEP_1)
	v_add_nc_u16 v10, v10, v11
	v_and_b32_e32 v11, 0xff, v10
	s_delay_alu instid0(VALU_DEP_1) | instskip(NEXT) | instid1(VALU_DEP_1)
	v_mov_b32_dpp v11, v11 row_ror:4 row_mask:0xf bank_mask:0xf
	v_add_nc_u16 v10, v10, v11
	s_delay_alu instid0(VALU_DEP_1) | instskip(NEXT) | instid1(VALU_DEP_1)
	v_and_b32_e32 v11, 0xff, v10
	v_mov_b32_dpp v11, v11 row_ror:8 row_mask:0xf bank_mask:0xf
	s_delay_alu instid0(VALU_DEP_1) | instskip(NEXT) | instid1(VALU_DEP_1)
	v_add_nc_u16 v10, v10, v11
	v_and_b32_e32 v11, 0xff, v10
	ds_swizzle_b32 v11, v11 offset:swizzle(BROADCAST,32,15)
	s_waitcnt lgkmcnt(0)
	v_add_nc_u16 v10, v10, v11
	s_delay_alu instid0(VALU_DEP_1)
	v_and_b32_e32 v10, 0xff, v10
	ds_bpermute_b32 v10, v4, v10
	s_and_saveexec_b32 s4, vcc_lo
	s_cbranch_execz .LBB26_4
; %bb.3:                                ;   in Loop: Header=BB26_2 Depth=1
	s_waitcnt lgkmcnt(0)
	ds_store_b8 v5, v10
.LBB26_4:                               ;   in Loop: Header=BB26_2 Depth=1
	s_or_b32 exec_lo, exec_lo, s4
	s_waitcnt lgkmcnt(0)
	s_barrier
	buffer_gl0_inv
	s_and_saveexec_b32 s4, s0
	s_cbranch_execz .LBB26_1
; %bb.5:                                ;   in Loop: Header=BB26_2 Depth=1
	ds_load_u8 v10, v6
	s_waitcnt lgkmcnt(0)
	v_and_b32_e32 v11, 0xff, v10
	ds_bpermute_b32 v11, v7, v11
	s_waitcnt lgkmcnt(0)
	v_add_nc_u16 v10, v10, v11
	s_branch .LBB26_1
.LBB26_6:
	s_mov_b32 s0, exec_lo
	v_cmpx_eq_u32_e32 0, v0
	s_cbranch_execz .LBB26_8
; %bb.7:
	v_mov_b32_e32 v0, s15
	global_store_b8 v0, v10, s[2:3]
.LBB26_8:
	s_nop 0
	s_sendmsg sendmsg(MSG_DEALLOC_VGPRS)
	s_endpgm
	.section	.rodata,"a",@progbits
	.p2align	6, 0x0
	.amdhsa_kernel _Z6kernelI6reduceILN6hipcub20BlockReduceAlgorithmE0EEaLj64ELj11ELj100EEvPKT0_PS4_
		.amdhsa_group_segment_fixed_size 2
		.amdhsa_private_segment_fixed_size 0
		.amdhsa_kernarg_size 272
		.amdhsa_user_sgpr_count 15
		.amdhsa_user_sgpr_dispatch_ptr 0
		.amdhsa_user_sgpr_queue_ptr 0
		.amdhsa_user_sgpr_kernarg_segment_ptr 1
		.amdhsa_user_sgpr_dispatch_id 0
		.amdhsa_user_sgpr_private_segment_size 0
		.amdhsa_wavefront_size32 1
		.amdhsa_uses_dynamic_stack 0
		.amdhsa_enable_private_segment 0
		.amdhsa_system_sgpr_workgroup_id_x 1
		.amdhsa_system_sgpr_workgroup_id_y 0
		.amdhsa_system_sgpr_workgroup_id_z 0
		.amdhsa_system_sgpr_workgroup_info 0
		.amdhsa_system_vgpr_workitem_id 0
		.amdhsa_next_free_vgpr 14
		.amdhsa_next_free_sgpr 16
		.amdhsa_reserve_vcc 1
		.amdhsa_float_round_mode_32 0
		.amdhsa_float_round_mode_16_64 0
		.amdhsa_float_denorm_mode_32 3
		.amdhsa_float_denorm_mode_16_64 3
		.amdhsa_dx10_clamp 1
		.amdhsa_ieee_mode 1
		.amdhsa_fp16_overflow 0
		.amdhsa_workgroup_processor_mode 1
		.amdhsa_memory_ordered 1
		.amdhsa_forward_progress 0
		.amdhsa_shared_vgpr_count 0
		.amdhsa_exception_fp_ieee_invalid_op 0
		.amdhsa_exception_fp_denorm_src 0
		.amdhsa_exception_fp_ieee_div_zero 0
		.amdhsa_exception_fp_ieee_overflow 0
		.amdhsa_exception_fp_ieee_underflow 0
		.amdhsa_exception_fp_ieee_inexact 0
		.amdhsa_exception_int_div_zero 0
	.end_amdhsa_kernel
	.section	.text._Z6kernelI6reduceILN6hipcub20BlockReduceAlgorithmE0EEaLj64ELj11ELj100EEvPKT0_PS4_,"axG",@progbits,_Z6kernelI6reduceILN6hipcub20BlockReduceAlgorithmE0EEaLj64ELj11ELj100EEvPKT0_PS4_,comdat
.Lfunc_end26:
	.size	_Z6kernelI6reduceILN6hipcub20BlockReduceAlgorithmE0EEaLj64ELj11ELj100EEvPKT0_PS4_, .Lfunc_end26-_Z6kernelI6reduceILN6hipcub20BlockReduceAlgorithmE0EEaLj64ELj11ELj100EEvPKT0_PS4_
                                        ; -- End function
	.section	.AMDGPU.csdata,"",@progbits
; Kernel info:
; codeLenInByte = 828
; NumSgprs: 18
; NumVgprs: 14
; ScratchSize: 0
; MemoryBound: 0
; FloatMode: 240
; IeeeMode: 1
; LDSByteSize: 2 bytes/workgroup (compile time only)
; SGPRBlocks: 2
; VGPRBlocks: 1
; NumSGPRsForWavesPerEU: 18
; NumVGPRsForWavesPerEU: 14
; Occupancy: 16
; WaveLimiterHint : 0
; COMPUTE_PGM_RSRC2:SCRATCH_EN: 0
; COMPUTE_PGM_RSRC2:USER_SGPR: 15
; COMPUTE_PGM_RSRC2:TRAP_HANDLER: 0
; COMPUTE_PGM_RSRC2:TGID_X_EN: 1
; COMPUTE_PGM_RSRC2:TGID_Y_EN: 0
; COMPUTE_PGM_RSRC2:TGID_Z_EN: 0
; COMPUTE_PGM_RSRC2:TIDIG_COMP_CNT: 0
	.section	.text._Z6kernelI6reduceILN6hipcub20BlockReduceAlgorithmE0EEaLj64ELj16ELj100EEvPKT0_PS4_,"axG",@progbits,_Z6kernelI6reduceILN6hipcub20BlockReduceAlgorithmE0EEaLj64ELj16ELj100EEvPKT0_PS4_,comdat
	.protected	_Z6kernelI6reduceILN6hipcub20BlockReduceAlgorithmE0EEaLj64ELj16ELj100EEvPKT0_PS4_ ; -- Begin function _Z6kernelI6reduceILN6hipcub20BlockReduceAlgorithmE0EEaLj64ELj16ELj100EEvPKT0_PS4_
	.globl	_Z6kernelI6reduceILN6hipcub20BlockReduceAlgorithmE0EEaLj64ELj16ELj100EEvPKT0_PS4_
	.p2align	8
	.type	_Z6kernelI6reduceILN6hipcub20BlockReduceAlgorithmE0EEaLj64ELj16ELj100EEvPKT0_PS4_,@function
_Z6kernelI6reduceILN6hipcub20BlockReduceAlgorithmE0EEaLj64ELj16ELj100EEvPKT0_PS4_: ; @_Z6kernelI6reduceILN6hipcub20BlockReduceAlgorithmE0EEaLj64ELj16ELj100EEvPKT0_PS4_
; %bb.0:
	s_clause 0x1
	s_load_b32 s4, s[0:1], 0x1c
	s_load_b128 s[0:3], s[0:1], 0x0
	v_mbcnt_lo_u32_b32 v8, -1, 0
	v_mov_b32_e32 v5, 0x7c
	v_lshrrev_b32_e32 v6, 5, v0
	s_delay_alu instid0(VALU_DEP_3) | instskip(SKIP_4) | instid1(SALU_CYCLE_1)
	v_cmp_eq_u32_e32 vcc_lo, 0, v8
	v_and_b32_e32 v7, 1, v8
	v_lshl_or_b32 v8, v8, 2, 4
	s_waitcnt lgkmcnt(0)
	s_and_b32 s4, s4, 0xffff
	s_mul_i32 s4, s15, s4
	s_delay_alu instid0(SALU_CYCLE_1)
	v_add_lshl_u32 v1, s4, v0, 4
	global_load_b128 v[1:4], v1, s[0:1]
	v_cmp_gt_u32_e64 s0, 32, v0
	s_movk_i32 s1, 0x64
	s_branch .LBB27_2
.LBB27_1:                               ;   in Loop: Header=BB27_2 Depth=1
	s_or_b32 exec_lo, exec_lo, s4
	s_delay_alu instid0(VALU_DEP_1) | instskip(SKIP_1) | instid1(SALU_CYCLE_1)
	v_perm_b32 v1, v9, v1, 0x3020104
	s_add_i32 s1, s1, -1
	s_cmp_eq_u32 s1, 0
	s_cbranch_scc1 .LBB27_6
.LBB27_2:                               ; =>This Inner Loop Header: Depth=1
	s_waitcnt vmcnt(0)
	v_lshrrev_b32_e32 v9, 8, v1
	v_lshrrev_b32_e32 v10, 16, v1
	;; [unrolled: 1-line block ×3, first 2 shown]
	s_delay_alu instid0(VALU_DEP_3) | instskip(NEXT) | instid1(VALU_DEP_1)
	v_add_nc_u16 v9, v9, v1
	v_add_nc_u16 v9, v9, v10
	v_lshrrev_b32_e32 v10, 8, v2
	s_delay_alu instid0(VALU_DEP_2) | instskip(SKIP_1) | instid1(VALU_DEP_2)
	v_add_nc_u16 v9, v9, v11
	v_lshrrev_b32_e32 v11, 16, v2
	v_add_nc_u16 v9, v9, v2
	s_delay_alu instid0(VALU_DEP_1) | instskip(SKIP_1) | instid1(VALU_DEP_2)
	v_add_nc_u16 v9, v9, v10
	v_lshrrev_b32_e32 v10, 24, v2
	v_add_nc_u16 v9, v9, v11
	v_lshrrev_b32_e32 v11, 16, v3
	s_delay_alu instid0(VALU_DEP_2) | instskip(SKIP_1) | instid1(VALU_DEP_2)
	v_add_nc_u16 v9, v9, v10
	v_lshrrev_b32_e32 v10, 8, v3
	v_add_nc_u16 v9, v9, v3
	s_delay_alu instid0(VALU_DEP_1) | instskip(SKIP_1) | instid1(VALU_DEP_2)
	v_add_nc_u16 v9, v9, v10
	v_lshrrev_b32_e32 v10, 24, v3
	;; [unrolled: 9-line block ×3, first 2 shown]
	v_add_nc_u16 v9, v9, v11
	s_delay_alu instid0(VALU_DEP_1) | instskip(NEXT) | instid1(VALU_DEP_1)
	v_add_nc_u16 v9, v9, v10
	v_and_b32_e32 v10, 0xff, v9
	s_delay_alu instid0(VALU_DEP_1) | instskip(NEXT) | instid1(VALU_DEP_1)
	v_mov_b32_dpp v10, v10 quad_perm:[1,0,3,2] row_mask:0xf bank_mask:0xf
	v_add_nc_u16 v9, v9, v10
	s_delay_alu instid0(VALU_DEP_1) | instskip(NEXT) | instid1(VALU_DEP_1)
	v_and_b32_e32 v10, 0xff, v9
	v_mov_b32_dpp v10, v10 quad_perm:[2,3,0,1] row_mask:0xf bank_mask:0xf
	s_delay_alu instid0(VALU_DEP_1) | instskip(NEXT) | instid1(VALU_DEP_1)
	v_add_nc_u16 v9, v9, v10
	v_and_b32_e32 v10, 0xff, v9
	s_delay_alu instid0(VALU_DEP_1) | instskip(NEXT) | instid1(VALU_DEP_1)
	v_mov_b32_dpp v10, v10 row_ror:4 row_mask:0xf bank_mask:0xf
	v_add_nc_u16 v9, v9, v10
	s_delay_alu instid0(VALU_DEP_1) | instskip(NEXT) | instid1(VALU_DEP_1)
	v_and_b32_e32 v10, 0xff, v9
	v_mov_b32_dpp v10, v10 row_ror:8 row_mask:0xf bank_mask:0xf
	s_delay_alu instid0(VALU_DEP_1) | instskip(NEXT) | instid1(VALU_DEP_1)
	v_add_nc_u16 v9, v9, v10
	v_and_b32_e32 v10, 0xff, v9
	ds_swizzle_b32 v10, v10 offset:swizzle(BROADCAST,32,15)
	s_waitcnt lgkmcnt(0)
	v_add_nc_u16 v9, v9, v10
	s_delay_alu instid0(VALU_DEP_1)
	v_and_b32_e32 v9, 0xff, v9
	ds_bpermute_b32 v9, v5, v9
	s_and_saveexec_b32 s4, vcc_lo
	s_cbranch_execz .LBB27_4
; %bb.3:                                ;   in Loop: Header=BB27_2 Depth=1
	s_waitcnt lgkmcnt(0)
	ds_store_b8 v6, v9
.LBB27_4:                               ;   in Loop: Header=BB27_2 Depth=1
	s_or_b32 exec_lo, exec_lo, s4
	s_waitcnt lgkmcnt(0)
	s_barrier
	buffer_gl0_inv
	s_and_saveexec_b32 s4, s0
	s_cbranch_execz .LBB27_1
; %bb.5:                                ;   in Loop: Header=BB27_2 Depth=1
	ds_load_u8 v9, v7
	s_waitcnt lgkmcnt(0)
	v_and_b32_e32 v10, 0xff, v9
	ds_bpermute_b32 v10, v8, v10
	s_waitcnt lgkmcnt(0)
	v_add_nc_u16 v9, v9, v10
	s_branch .LBB27_1
.LBB27_6:
	s_mov_b32 s0, exec_lo
	v_cmpx_eq_u32_e32 0, v0
	s_cbranch_execz .LBB27_8
; %bb.7:
	v_mov_b32_e32 v0, s15
	global_store_b8 v0, v9, s[2:3]
.LBB27_8:
	s_nop 0
	s_sendmsg sendmsg(MSG_DEALLOC_VGPRS)
	s_endpgm
	.section	.rodata,"a",@progbits
	.p2align	6, 0x0
	.amdhsa_kernel _Z6kernelI6reduceILN6hipcub20BlockReduceAlgorithmE0EEaLj64ELj16ELj100EEvPKT0_PS4_
		.amdhsa_group_segment_fixed_size 2
		.amdhsa_private_segment_fixed_size 0
		.amdhsa_kernarg_size 272
		.amdhsa_user_sgpr_count 15
		.amdhsa_user_sgpr_dispatch_ptr 0
		.amdhsa_user_sgpr_queue_ptr 0
		.amdhsa_user_sgpr_kernarg_segment_ptr 1
		.amdhsa_user_sgpr_dispatch_id 0
		.amdhsa_user_sgpr_private_segment_size 0
		.amdhsa_wavefront_size32 1
		.amdhsa_uses_dynamic_stack 0
		.amdhsa_enable_private_segment 0
		.amdhsa_system_sgpr_workgroup_id_x 1
		.amdhsa_system_sgpr_workgroup_id_y 0
		.amdhsa_system_sgpr_workgroup_id_z 0
		.amdhsa_system_sgpr_workgroup_info 0
		.amdhsa_system_vgpr_workitem_id 0
		.amdhsa_next_free_vgpr 12
		.amdhsa_next_free_sgpr 16
		.amdhsa_reserve_vcc 1
		.amdhsa_float_round_mode_32 0
		.amdhsa_float_round_mode_16_64 0
		.amdhsa_float_denorm_mode_32 3
		.amdhsa_float_denorm_mode_16_64 3
		.amdhsa_dx10_clamp 1
		.amdhsa_ieee_mode 1
		.amdhsa_fp16_overflow 0
		.amdhsa_workgroup_processor_mode 1
		.amdhsa_memory_ordered 1
		.amdhsa_forward_progress 0
		.amdhsa_shared_vgpr_count 0
		.amdhsa_exception_fp_ieee_invalid_op 0
		.amdhsa_exception_fp_denorm_src 0
		.amdhsa_exception_fp_ieee_div_zero 0
		.amdhsa_exception_fp_ieee_overflow 0
		.amdhsa_exception_fp_ieee_underflow 0
		.amdhsa_exception_fp_ieee_inexact 0
		.amdhsa_exception_int_div_zero 0
	.end_amdhsa_kernel
	.section	.text._Z6kernelI6reduceILN6hipcub20BlockReduceAlgorithmE0EEaLj64ELj16ELj100EEvPKT0_PS4_,"axG",@progbits,_Z6kernelI6reduceILN6hipcub20BlockReduceAlgorithmE0EEaLj64ELj16ELj100EEvPKT0_PS4_,comdat
.Lfunc_end27:
	.size	_Z6kernelI6reduceILN6hipcub20BlockReduceAlgorithmE0EEaLj64ELj16ELj100EEvPKT0_PS4_, .Lfunc_end27-_Z6kernelI6reduceILN6hipcub20BlockReduceAlgorithmE0EEaLj64ELj16ELj100EEvPKT0_PS4_
                                        ; -- End function
	.section	.AMDGPU.csdata,"",@progbits
; Kernel info:
; codeLenInByte = 644
; NumSgprs: 18
; NumVgprs: 12
; ScratchSize: 0
; MemoryBound: 0
; FloatMode: 240
; IeeeMode: 1
; LDSByteSize: 2 bytes/workgroup (compile time only)
; SGPRBlocks: 2
; VGPRBlocks: 1
; NumSGPRsForWavesPerEU: 18
; NumVGPRsForWavesPerEU: 12
; Occupancy: 16
; WaveLimiterHint : 0
; COMPUTE_PGM_RSRC2:SCRATCH_EN: 0
; COMPUTE_PGM_RSRC2:USER_SGPR: 15
; COMPUTE_PGM_RSRC2:TRAP_HANDLER: 0
; COMPUTE_PGM_RSRC2:TGID_X_EN: 1
; COMPUTE_PGM_RSRC2:TGID_Y_EN: 0
; COMPUTE_PGM_RSRC2:TGID_Z_EN: 0
; COMPUTE_PGM_RSRC2:TIDIG_COMP_CNT: 0
	.section	.text._Z6kernelI6reduceILN6hipcub20BlockReduceAlgorithmE0EEhLj64ELj1ELj100EEvPKT0_PS4_,"axG",@progbits,_Z6kernelI6reduceILN6hipcub20BlockReduceAlgorithmE0EEhLj64ELj1ELj100EEvPKT0_PS4_,comdat
	.protected	_Z6kernelI6reduceILN6hipcub20BlockReduceAlgorithmE0EEhLj64ELj1ELj100EEvPKT0_PS4_ ; -- Begin function _Z6kernelI6reduceILN6hipcub20BlockReduceAlgorithmE0EEhLj64ELj1ELj100EEvPKT0_PS4_
	.globl	_Z6kernelI6reduceILN6hipcub20BlockReduceAlgorithmE0EEhLj64ELj1ELj100EEvPKT0_PS4_
	.p2align	8
	.type	_Z6kernelI6reduceILN6hipcub20BlockReduceAlgorithmE0EEhLj64ELj1ELj100EEvPKT0_PS4_,@function
_Z6kernelI6reduceILN6hipcub20BlockReduceAlgorithmE0EEhLj64ELj1ELj100EEvPKT0_PS4_: ; @_Z6kernelI6reduceILN6hipcub20BlockReduceAlgorithmE0EEhLj64ELj1ELj100EEvPKT0_PS4_
; %bb.0:
	s_clause 0x1
	s_load_b32 s4, s[0:1], 0x1c
	s_load_b128 s[0:3], s[0:1], 0x0
	v_mbcnt_lo_u32_b32 v5, -1, 0
	s_delay_alu instid0(VALU_DEP_1) | instskip(SKIP_4) | instid1(SALU_CYCLE_1)
	v_cmp_eq_u32_e32 vcc_lo, 0, v5
	v_and_b32_e32 v4, 1, v5
	v_lshl_or_b32 v5, v5, 2, 4
	s_waitcnt lgkmcnt(0)
	s_and_b32 s4, s4, 0xffff
	v_mad_u64_u32 v[1:2], null, s15, s4, v[0:1]
	v_lshrrev_b32_e32 v2, 5, v0
	global_load_u8 v3, v1, s[0:1]
	v_mov_b32_e32 v1, 0x7c
	v_cmp_gt_u32_e64 s0, 32, v0
	s_movk_i32 s1, 0x64
	s_branch .LBB28_2
.LBB28_1:                               ;   in Loop: Header=BB28_2 Depth=1
	s_or_b32 exec_lo, exec_lo, s4
	s_add_i32 s1, s1, -1
	s_delay_alu instid0(SALU_CYCLE_1)
	s_cmp_eq_u32 s1, 0
	s_cbranch_scc1 .LBB28_6
.LBB28_2:                               ; =>This Inner Loop Header: Depth=1
	s_waitcnt vmcnt(0)
	v_and_b32_e32 v6, 0xff, v3
	s_delay_alu instid0(VALU_DEP_1) | instskip(NEXT) | instid1(VALU_DEP_1)
	v_mov_b32_dpp v6, v6 quad_perm:[1,0,3,2] row_mask:0xf bank_mask:0xf
	v_add_nc_u16 v3, v3, v6
	s_delay_alu instid0(VALU_DEP_1) | instskip(NEXT) | instid1(VALU_DEP_1)
	v_and_b32_e32 v6, 0xff, v3
	v_mov_b32_dpp v6, v6 quad_perm:[2,3,0,1] row_mask:0xf bank_mask:0xf
	s_delay_alu instid0(VALU_DEP_1) | instskip(NEXT) | instid1(VALU_DEP_1)
	v_add_nc_u16 v3, v3, v6
	v_and_b32_e32 v6, 0xff, v3
	s_delay_alu instid0(VALU_DEP_1) | instskip(NEXT) | instid1(VALU_DEP_1)
	v_mov_b32_dpp v6, v6 row_ror:4 row_mask:0xf bank_mask:0xf
	v_add_nc_u16 v3, v3, v6
	s_delay_alu instid0(VALU_DEP_1) | instskip(NEXT) | instid1(VALU_DEP_1)
	v_and_b32_e32 v6, 0xff, v3
	v_mov_b32_dpp v6, v6 row_ror:8 row_mask:0xf bank_mask:0xf
	s_delay_alu instid0(VALU_DEP_1) | instskip(NEXT) | instid1(VALU_DEP_1)
	v_add_nc_u16 v3, v3, v6
	v_and_b32_e32 v6, 0xff, v3
	ds_swizzle_b32 v6, v6 offset:swizzle(BROADCAST,32,15)
	s_waitcnt lgkmcnt(0)
	v_add_nc_u16 v3, v3, v6
	s_delay_alu instid0(VALU_DEP_1)
	v_and_b32_e32 v3, 0xff, v3
	ds_bpermute_b32 v3, v1, v3
	s_and_saveexec_b32 s4, vcc_lo
	s_cbranch_execz .LBB28_4
; %bb.3:                                ;   in Loop: Header=BB28_2 Depth=1
	s_waitcnt lgkmcnt(0)
	ds_store_b8 v2, v3
.LBB28_4:                               ;   in Loop: Header=BB28_2 Depth=1
	s_or_b32 exec_lo, exec_lo, s4
	s_waitcnt lgkmcnt(0)
	s_barrier
	buffer_gl0_inv
	s_and_saveexec_b32 s4, s0
	s_cbranch_execz .LBB28_1
; %bb.5:                                ;   in Loop: Header=BB28_2 Depth=1
	ds_load_u8 v3, v4
	s_waitcnt lgkmcnt(0)
	v_and_b32_e32 v6, 0xff, v3
	ds_bpermute_b32 v6, v5, v6
	s_waitcnt lgkmcnt(0)
	v_add_nc_u16 v3, v3, v6
	s_branch .LBB28_1
.LBB28_6:
	s_mov_b32 s0, exec_lo
	v_cmpx_eq_u32_e32 0, v0
	s_cbranch_execz .LBB28_8
; %bb.7:
	v_mov_b32_e32 v0, s15
	global_store_b8 v0, v3, s[2:3]
.LBB28_8:
	s_nop 0
	s_sendmsg sendmsg(MSG_DEALLOC_VGPRS)
	s_endpgm
	.section	.rodata,"a",@progbits
	.p2align	6, 0x0
	.amdhsa_kernel _Z6kernelI6reduceILN6hipcub20BlockReduceAlgorithmE0EEhLj64ELj1ELj100EEvPKT0_PS4_
		.amdhsa_group_segment_fixed_size 2
		.amdhsa_private_segment_fixed_size 0
		.amdhsa_kernarg_size 272
		.amdhsa_user_sgpr_count 15
		.amdhsa_user_sgpr_dispatch_ptr 0
		.amdhsa_user_sgpr_queue_ptr 0
		.amdhsa_user_sgpr_kernarg_segment_ptr 1
		.amdhsa_user_sgpr_dispatch_id 0
		.amdhsa_user_sgpr_private_segment_size 0
		.amdhsa_wavefront_size32 1
		.amdhsa_uses_dynamic_stack 0
		.amdhsa_enable_private_segment 0
		.amdhsa_system_sgpr_workgroup_id_x 1
		.amdhsa_system_sgpr_workgroup_id_y 0
		.amdhsa_system_sgpr_workgroup_id_z 0
		.amdhsa_system_sgpr_workgroup_info 0
		.amdhsa_system_vgpr_workitem_id 0
		.amdhsa_next_free_vgpr 7
		.amdhsa_next_free_sgpr 16
		.amdhsa_reserve_vcc 1
		.amdhsa_float_round_mode_32 0
		.amdhsa_float_round_mode_16_64 0
		.amdhsa_float_denorm_mode_32 3
		.amdhsa_float_denorm_mode_16_64 3
		.amdhsa_dx10_clamp 1
		.amdhsa_ieee_mode 1
		.amdhsa_fp16_overflow 0
		.amdhsa_workgroup_processor_mode 1
		.amdhsa_memory_ordered 1
		.amdhsa_forward_progress 0
		.amdhsa_shared_vgpr_count 0
		.amdhsa_exception_fp_ieee_invalid_op 0
		.amdhsa_exception_fp_denorm_src 0
		.amdhsa_exception_fp_ieee_div_zero 0
		.amdhsa_exception_fp_ieee_overflow 0
		.amdhsa_exception_fp_ieee_underflow 0
		.amdhsa_exception_fp_ieee_inexact 0
		.amdhsa_exception_int_div_zero 0
	.end_amdhsa_kernel
	.section	.text._Z6kernelI6reduceILN6hipcub20BlockReduceAlgorithmE0EEhLj64ELj1ELj100EEvPKT0_PS4_,"axG",@progbits,_Z6kernelI6reduceILN6hipcub20BlockReduceAlgorithmE0EEhLj64ELj1ELj100EEvPKT0_PS4_,comdat
.Lfunc_end28:
	.size	_Z6kernelI6reduceILN6hipcub20BlockReduceAlgorithmE0EEhLj64ELj1ELj100EEvPKT0_PS4_, .Lfunc_end28-_Z6kernelI6reduceILN6hipcub20BlockReduceAlgorithmE0EEhLj64ELj1ELj100EEvPKT0_PS4_
                                        ; -- End function
	.section	.AMDGPU.csdata,"",@progbits
; Kernel info:
; codeLenInByte = 424
; NumSgprs: 18
; NumVgprs: 7
; ScratchSize: 0
; MemoryBound: 0
; FloatMode: 240
; IeeeMode: 1
; LDSByteSize: 2 bytes/workgroup (compile time only)
; SGPRBlocks: 2
; VGPRBlocks: 0
; NumSGPRsForWavesPerEU: 18
; NumVGPRsForWavesPerEU: 7
; Occupancy: 16
; WaveLimiterHint : 0
; COMPUTE_PGM_RSRC2:SCRATCH_EN: 0
; COMPUTE_PGM_RSRC2:USER_SGPR: 15
; COMPUTE_PGM_RSRC2:TRAP_HANDLER: 0
; COMPUTE_PGM_RSRC2:TGID_X_EN: 1
; COMPUTE_PGM_RSRC2:TGID_Y_EN: 0
; COMPUTE_PGM_RSRC2:TGID_Z_EN: 0
; COMPUTE_PGM_RSRC2:TIDIG_COMP_CNT: 0
	.section	.text._Z6kernelI6reduceILN6hipcub20BlockReduceAlgorithmE0EEhLj64ELj2ELj100EEvPKT0_PS4_,"axG",@progbits,_Z6kernelI6reduceILN6hipcub20BlockReduceAlgorithmE0EEhLj64ELj2ELj100EEvPKT0_PS4_,comdat
	.protected	_Z6kernelI6reduceILN6hipcub20BlockReduceAlgorithmE0EEhLj64ELj2ELj100EEvPKT0_PS4_ ; -- Begin function _Z6kernelI6reduceILN6hipcub20BlockReduceAlgorithmE0EEhLj64ELj2ELj100EEvPKT0_PS4_
	.globl	_Z6kernelI6reduceILN6hipcub20BlockReduceAlgorithmE0EEhLj64ELj2ELj100EEvPKT0_PS4_
	.p2align	8
	.type	_Z6kernelI6reduceILN6hipcub20BlockReduceAlgorithmE0EEhLj64ELj2ELj100EEvPKT0_PS4_,@function
_Z6kernelI6reduceILN6hipcub20BlockReduceAlgorithmE0EEhLj64ELj2ELj100EEvPKT0_PS4_: ; @_Z6kernelI6reduceILN6hipcub20BlockReduceAlgorithmE0EEhLj64ELj2ELj100EEvPKT0_PS4_
; %bb.0:
	s_clause 0x1
	s_load_b32 s4, s[0:1], 0x1c
	s_load_b128 s[0:3], s[0:1], 0x0
	v_mbcnt_lo_u32_b32 v5, -1, 0
	v_lshrrev_b32_e32 v3, 5, v0
	s_delay_alu instid0(VALU_DEP_2) | instskip(SKIP_4) | instid1(SALU_CYCLE_1)
	v_cmp_eq_u32_e32 vcc_lo, 0, v5
	v_and_b32_e32 v4, 1, v5
	v_lshl_or_b32 v5, v5, 2, 4
	s_waitcnt lgkmcnt(0)
	s_and_b32 s4, s4, 0xffff
	s_mul_i32 s4, s15, s4
	s_delay_alu instid0(SALU_CYCLE_1)
	v_add_lshl_u32 v1, s4, v0, 1
	global_load_u16 v2, v1, s[0:1]
	v_mov_b32_e32 v1, 0x7c
	v_cmp_gt_u32_e64 s0, 32, v0
	s_movk_i32 s1, 0x64
	s_branch .LBB29_2
.LBB29_1:                               ;   in Loop: Header=BB29_2 Depth=1
	s_or_b32 exec_lo, exec_lo, s4
	v_and_b32_e32 v2, 0xffffff00, v2
	s_delay_alu instid0(VALU_DEP_2) | instskip(SKIP_1) | instid1(SALU_CYCLE_1)
	v_and_b32_e32 v7, 0xff, v6
	s_add_i32 s1, s1, -1
	s_cmp_eq_u32 s1, 0
	s_delay_alu instid0(VALU_DEP_1) | instskip(NEXT) | instid1(VALU_DEP_1)
	v_or_b32_e32 v2, v7, v2
	v_and_b32_e32 v2, 0xffff, v2
	s_cbranch_scc1 .LBB29_6
.LBB29_2:                               ; =>This Inner Loop Header: Depth=1
	s_waitcnt vmcnt(0)
	s_delay_alu instid0(VALU_DEP_1) | instskip(NEXT) | instid1(VALU_DEP_1)
	v_lshrrev_b16 v6, 8, v2
	v_add_nc_u16 v6, v6, v2
	s_delay_alu instid0(VALU_DEP_1) | instskip(NEXT) | instid1(VALU_DEP_1)
	v_and_b32_e32 v7, 0xff, v6
	v_mov_b32_dpp v7, v7 quad_perm:[1,0,3,2] row_mask:0xf bank_mask:0xf
	s_delay_alu instid0(VALU_DEP_1) | instskip(NEXT) | instid1(VALU_DEP_1)
	v_add_nc_u16 v6, v6, v7
	v_and_b32_e32 v7, 0xff, v6
	s_delay_alu instid0(VALU_DEP_1) | instskip(NEXT) | instid1(VALU_DEP_1)
	v_mov_b32_dpp v7, v7 quad_perm:[2,3,0,1] row_mask:0xf bank_mask:0xf
	v_add_nc_u16 v6, v6, v7
	s_delay_alu instid0(VALU_DEP_1) | instskip(NEXT) | instid1(VALU_DEP_1)
	v_and_b32_e32 v7, 0xff, v6
	v_mov_b32_dpp v7, v7 row_ror:4 row_mask:0xf bank_mask:0xf
	s_delay_alu instid0(VALU_DEP_1) | instskip(NEXT) | instid1(VALU_DEP_1)
	v_add_nc_u16 v6, v6, v7
	v_and_b32_e32 v7, 0xff, v6
	s_delay_alu instid0(VALU_DEP_1) | instskip(NEXT) | instid1(VALU_DEP_1)
	v_mov_b32_dpp v7, v7 row_ror:8 row_mask:0xf bank_mask:0xf
	v_add_nc_u16 v6, v6, v7
	s_delay_alu instid0(VALU_DEP_1) | instskip(SKIP_3) | instid1(VALU_DEP_1)
	v_and_b32_e32 v7, 0xff, v6
	ds_swizzle_b32 v7, v7 offset:swizzle(BROADCAST,32,15)
	s_waitcnt lgkmcnt(0)
	v_add_nc_u16 v6, v6, v7
	v_and_b32_e32 v6, 0xff, v6
	ds_bpermute_b32 v6, v1, v6
	s_and_saveexec_b32 s4, vcc_lo
	s_cbranch_execz .LBB29_4
; %bb.3:                                ;   in Loop: Header=BB29_2 Depth=1
	s_waitcnt lgkmcnt(0)
	ds_store_b8 v3, v6
.LBB29_4:                               ;   in Loop: Header=BB29_2 Depth=1
	s_or_b32 exec_lo, exec_lo, s4
	s_waitcnt lgkmcnt(0)
	s_barrier
	buffer_gl0_inv
	s_and_saveexec_b32 s4, s0
	s_cbranch_execz .LBB29_1
; %bb.5:                                ;   in Loop: Header=BB29_2 Depth=1
	ds_load_u8 v6, v4
	s_waitcnt lgkmcnt(0)
	v_and_b32_e32 v7, 0xff, v6
	ds_bpermute_b32 v7, v5, v7
	s_waitcnt lgkmcnt(0)
	v_add_nc_u16 v6, v6, v7
	s_branch .LBB29_1
.LBB29_6:
	s_mov_b32 s0, exec_lo
	v_cmpx_eq_u32_e32 0, v0
	s_cbranch_execz .LBB29_8
; %bb.7:
	v_mov_b32_e32 v0, s15
	global_store_b8 v0, v6, s[2:3]
.LBB29_8:
	s_nop 0
	s_sendmsg sendmsg(MSG_DEALLOC_VGPRS)
	s_endpgm
	.section	.rodata,"a",@progbits
	.p2align	6, 0x0
	.amdhsa_kernel _Z6kernelI6reduceILN6hipcub20BlockReduceAlgorithmE0EEhLj64ELj2ELj100EEvPKT0_PS4_
		.amdhsa_group_segment_fixed_size 2
		.amdhsa_private_segment_fixed_size 0
		.amdhsa_kernarg_size 272
		.amdhsa_user_sgpr_count 15
		.amdhsa_user_sgpr_dispatch_ptr 0
		.amdhsa_user_sgpr_queue_ptr 0
		.amdhsa_user_sgpr_kernarg_segment_ptr 1
		.amdhsa_user_sgpr_dispatch_id 0
		.amdhsa_user_sgpr_private_segment_size 0
		.amdhsa_wavefront_size32 1
		.amdhsa_uses_dynamic_stack 0
		.amdhsa_enable_private_segment 0
		.amdhsa_system_sgpr_workgroup_id_x 1
		.amdhsa_system_sgpr_workgroup_id_y 0
		.amdhsa_system_sgpr_workgroup_id_z 0
		.amdhsa_system_sgpr_workgroup_info 0
		.amdhsa_system_vgpr_workitem_id 0
		.amdhsa_next_free_vgpr 8
		.amdhsa_next_free_sgpr 16
		.amdhsa_reserve_vcc 1
		.amdhsa_float_round_mode_32 0
		.amdhsa_float_round_mode_16_64 0
		.amdhsa_float_denorm_mode_32 3
		.amdhsa_float_denorm_mode_16_64 3
		.amdhsa_dx10_clamp 1
		.amdhsa_ieee_mode 1
		.amdhsa_fp16_overflow 0
		.amdhsa_workgroup_processor_mode 1
		.amdhsa_memory_ordered 1
		.amdhsa_forward_progress 0
		.amdhsa_shared_vgpr_count 0
		.amdhsa_exception_fp_ieee_invalid_op 0
		.amdhsa_exception_fp_denorm_src 0
		.amdhsa_exception_fp_ieee_div_zero 0
		.amdhsa_exception_fp_ieee_overflow 0
		.amdhsa_exception_fp_ieee_underflow 0
		.amdhsa_exception_fp_ieee_inexact 0
		.amdhsa_exception_int_div_zero 0
	.end_amdhsa_kernel
	.section	.text._Z6kernelI6reduceILN6hipcub20BlockReduceAlgorithmE0EEhLj64ELj2ELj100EEvPKT0_PS4_,"axG",@progbits,_Z6kernelI6reduceILN6hipcub20BlockReduceAlgorithmE0EEhLj64ELj2ELj100EEvPKT0_PS4_,comdat
.Lfunc_end29:
	.size	_Z6kernelI6reduceILN6hipcub20BlockReduceAlgorithmE0EEhLj64ELj2ELj100EEvPKT0_PS4_, .Lfunc_end29-_Z6kernelI6reduceILN6hipcub20BlockReduceAlgorithmE0EEhLj64ELj2ELj100EEvPKT0_PS4_
                                        ; -- End function
	.section	.AMDGPU.csdata,"",@progbits
; Kernel info:
; codeLenInByte = 484
; NumSgprs: 18
; NumVgprs: 8
; ScratchSize: 0
; MemoryBound: 0
; FloatMode: 240
; IeeeMode: 1
; LDSByteSize: 2 bytes/workgroup (compile time only)
; SGPRBlocks: 2
; VGPRBlocks: 0
; NumSGPRsForWavesPerEU: 18
; NumVGPRsForWavesPerEU: 8
; Occupancy: 16
; WaveLimiterHint : 0
; COMPUTE_PGM_RSRC2:SCRATCH_EN: 0
; COMPUTE_PGM_RSRC2:USER_SGPR: 15
; COMPUTE_PGM_RSRC2:TRAP_HANDLER: 0
; COMPUTE_PGM_RSRC2:TGID_X_EN: 1
; COMPUTE_PGM_RSRC2:TGID_Y_EN: 0
; COMPUTE_PGM_RSRC2:TGID_Z_EN: 0
; COMPUTE_PGM_RSRC2:TIDIG_COMP_CNT: 0
	.section	.text._Z6kernelI6reduceILN6hipcub20BlockReduceAlgorithmE0EEhLj64ELj3ELj100EEvPKT0_PS4_,"axG",@progbits,_Z6kernelI6reduceILN6hipcub20BlockReduceAlgorithmE0EEhLj64ELj3ELj100EEvPKT0_PS4_,comdat
	.protected	_Z6kernelI6reduceILN6hipcub20BlockReduceAlgorithmE0EEhLj64ELj3ELj100EEvPKT0_PS4_ ; -- Begin function _Z6kernelI6reduceILN6hipcub20BlockReduceAlgorithmE0EEhLj64ELj3ELj100EEvPKT0_PS4_
	.globl	_Z6kernelI6reduceILN6hipcub20BlockReduceAlgorithmE0EEhLj64ELj3ELj100EEvPKT0_PS4_
	.p2align	8
	.type	_Z6kernelI6reduceILN6hipcub20BlockReduceAlgorithmE0EEhLj64ELj3ELj100EEvPKT0_PS4_,@function
_Z6kernelI6reduceILN6hipcub20BlockReduceAlgorithmE0EEhLj64ELj3ELj100EEvPKT0_PS4_: ; @_Z6kernelI6reduceILN6hipcub20BlockReduceAlgorithmE0EEhLj64ELj3ELj100EEvPKT0_PS4_
; %bb.0:
	s_clause 0x1
	s_load_b32 s4, s[0:1], 0x1c
	s_load_b128 s[0:3], s[0:1], 0x0
	v_mbcnt_lo_u32_b32 v5, -1, 0
	s_delay_alu instid0(VALU_DEP_1) | instskip(SKIP_2) | instid1(SALU_CYCLE_1)
	v_cmp_eq_u32_e32 vcc_lo, 0, v5
	s_waitcnt lgkmcnt(0)
	s_and_b32 s4, s4, 0xffff
	v_mad_u64_u32 v[1:2], null, s15, s4, v[0:1]
	s_delay_alu instid0(VALU_DEP_1) | instskip(NEXT) | instid1(VALU_DEP_1)
	v_lshl_add_u32 v1, v1, 1, v1
	v_add_nc_u32_e32 v2, 1, v1
	s_clause 0x1
	global_load_u8 v2, v2, s[0:1]
	global_load_u8 v3, v1, s[0:1]
	v_add_nc_u32_e32 v1, 2, v1
	global_load_u8 v4, v1, s[0:1]
	v_cmp_gt_u32_e64 s0, 32, v0
	s_movk_i32 s1, 0x64
	s_waitcnt vmcnt(2)
	v_lshlrev_b16 v1, 8, v2
	s_waitcnt vmcnt(1)
	s_delay_alu instid0(VALU_DEP_1) | instskip(SKIP_3) | instid1(VALU_DEP_4)
	v_or_b32_e32 v2, v3, v1
	v_mov_b32_e32 v1, 0x7c
	v_and_b32_e32 v3, 1, v5
	v_lshl_or_b32 v5, v5, 2, 4
	v_and_b32_e32 v6, 0xffff, v2
	v_lshrrev_b32_e32 v2, 5, v0
	s_waitcnt vmcnt(0)
	s_delay_alu instid0(VALU_DEP_2)
	v_lshl_or_b32 v4, v4, 16, v6
	s_branch .LBB30_2
.LBB30_1:                               ;   in Loop: Header=BB30_2 Depth=1
	s_or_b32 exec_lo, exec_lo, s4
	s_delay_alu instid0(VALU_DEP_1) | instskip(SKIP_2) | instid1(SALU_CYCLE_1)
	v_and_b32_e32 v8, 0xff, v7
	v_lshlrev_b16 v6, 8, v6
	s_add_i32 s1, s1, -1
	s_cmp_eq_u32 s1, 0
	s_delay_alu instid0(VALU_DEP_1) | instskip(NEXT) | instid1(VALU_DEP_1)
	v_or_b32_e32 v6, v8, v6
	v_and_b32_e32 v6, 0xffff, v6
	s_delay_alu instid0(VALU_DEP_1)
	v_and_or_b32 v4, 0xff0000, v4, v6
	s_cbranch_scc1 .LBB30_6
.LBB30_2:                               ; =>This Inner Loop Header: Depth=1
	s_delay_alu instid0(VALU_DEP_1) | instskip(SKIP_1) | instid1(VALU_DEP_2)
	v_lshrrev_b32_e32 v6, 8, v4
	v_lshrrev_b32_e32 v7, 16, v4
	v_add_nc_u16 v8, v6, v4
	s_delay_alu instid0(VALU_DEP_1) | instskip(NEXT) | instid1(VALU_DEP_1)
	v_add_nc_u16 v7, v8, v7
	v_and_b32_e32 v8, 0xff, v7
	s_delay_alu instid0(VALU_DEP_1) | instskip(NEXT) | instid1(VALU_DEP_1)
	v_mov_b32_dpp v8, v8 quad_perm:[1,0,3,2] row_mask:0xf bank_mask:0xf
	v_add_nc_u16 v7, v7, v8
	s_delay_alu instid0(VALU_DEP_1) | instskip(NEXT) | instid1(VALU_DEP_1)
	v_and_b32_e32 v8, 0xff, v7
	v_mov_b32_dpp v8, v8 quad_perm:[2,3,0,1] row_mask:0xf bank_mask:0xf
	s_delay_alu instid0(VALU_DEP_1) | instskip(NEXT) | instid1(VALU_DEP_1)
	v_add_nc_u16 v7, v7, v8
	v_and_b32_e32 v8, 0xff, v7
	s_delay_alu instid0(VALU_DEP_1) | instskip(NEXT) | instid1(VALU_DEP_1)
	v_mov_b32_dpp v8, v8 row_ror:4 row_mask:0xf bank_mask:0xf
	v_add_nc_u16 v7, v7, v8
	s_delay_alu instid0(VALU_DEP_1) | instskip(NEXT) | instid1(VALU_DEP_1)
	v_and_b32_e32 v8, 0xff, v7
	v_mov_b32_dpp v8, v8 row_ror:8 row_mask:0xf bank_mask:0xf
	s_delay_alu instid0(VALU_DEP_1) | instskip(NEXT) | instid1(VALU_DEP_1)
	v_add_nc_u16 v7, v7, v8
	v_and_b32_e32 v8, 0xff, v7
	ds_swizzle_b32 v8, v8 offset:swizzle(BROADCAST,32,15)
	s_waitcnt lgkmcnt(0)
	v_add_nc_u16 v7, v7, v8
	s_delay_alu instid0(VALU_DEP_1)
	v_and_b32_e32 v7, 0xff, v7
	ds_bpermute_b32 v7, v1, v7
	s_and_saveexec_b32 s4, vcc_lo
	s_cbranch_execz .LBB30_4
; %bb.3:                                ;   in Loop: Header=BB30_2 Depth=1
	s_waitcnt lgkmcnt(0)
	ds_store_b8 v2, v7
.LBB30_4:                               ;   in Loop: Header=BB30_2 Depth=1
	s_or_b32 exec_lo, exec_lo, s4
	s_waitcnt lgkmcnt(0)
	s_barrier
	buffer_gl0_inv
	s_and_saveexec_b32 s4, s0
	s_cbranch_execz .LBB30_1
; %bb.5:                                ;   in Loop: Header=BB30_2 Depth=1
	ds_load_u8 v7, v3
	s_waitcnt lgkmcnt(0)
	v_and_b32_e32 v8, 0xff, v7
	ds_bpermute_b32 v8, v5, v8
	s_waitcnt lgkmcnt(0)
	v_add_nc_u16 v7, v7, v8
	s_branch .LBB30_1
.LBB30_6:
	s_mov_b32 s0, exec_lo
	v_cmpx_eq_u32_e32 0, v0
	s_cbranch_execz .LBB30_8
; %bb.7:
	v_mov_b32_e32 v0, s15
	global_store_b8 v0, v7, s[2:3]
.LBB30_8:
	s_nop 0
	s_sendmsg sendmsg(MSG_DEALLOC_VGPRS)
	s_endpgm
	.section	.rodata,"a",@progbits
	.p2align	6, 0x0
	.amdhsa_kernel _Z6kernelI6reduceILN6hipcub20BlockReduceAlgorithmE0EEhLj64ELj3ELj100EEvPKT0_PS4_
		.amdhsa_group_segment_fixed_size 2
		.amdhsa_private_segment_fixed_size 0
		.amdhsa_kernarg_size 272
		.amdhsa_user_sgpr_count 15
		.amdhsa_user_sgpr_dispatch_ptr 0
		.amdhsa_user_sgpr_queue_ptr 0
		.amdhsa_user_sgpr_kernarg_segment_ptr 1
		.amdhsa_user_sgpr_dispatch_id 0
		.amdhsa_user_sgpr_private_segment_size 0
		.amdhsa_wavefront_size32 1
		.amdhsa_uses_dynamic_stack 0
		.amdhsa_enable_private_segment 0
		.amdhsa_system_sgpr_workgroup_id_x 1
		.amdhsa_system_sgpr_workgroup_id_y 0
		.amdhsa_system_sgpr_workgroup_id_z 0
		.amdhsa_system_sgpr_workgroup_info 0
		.amdhsa_system_vgpr_workitem_id 0
		.amdhsa_next_free_vgpr 9
		.amdhsa_next_free_sgpr 16
		.amdhsa_reserve_vcc 1
		.amdhsa_float_round_mode_32 0
		.amdhsa_float_round_mode_16_64 0
		.amdhsa_float_denorm_mode_32 3
		.amdhsa_float_denorm_mode_16_64 3
		.amdhsa_dx10_clamp 1
		.amdhsa_ieee_mode 1
		.amdhsa_fp16_overflow 0
		.amdhsa_workgroup_processor_mode 1
		.amdhsa_memory_ordered 1
		.amdhsa_forward_progress 0
		.amdhsa_shared_vgpr_count 0
		.amdhsa_exception_fp_ieee_invalid_op 0
		.amdhsa_exception_fp_denorm_src 0
		.amdhsa_exception_fp_ieee_div_zero 0
		.amdhsa_exception_fp_ieee_overflow 0
		.amdhsa_exception_fp_ieee_underflow 0
		.amdhsa_exception_fp_ieee_inexact 0
		.amdhsa_exception_int_div_zero 0
	.end_amdhsa_kernel
	.section	.text._Z6kernelI6reduceILN6hipcub20BlockReduceAlgorithmE0EEhLj64ELj3ELj100EEvPKT0_PS4_,"axG",@progbits,_Z6kernelI6reduceILN6hipcub20BlockReduceAlgorithmE0EEhLj64ELj3ELj100EEvPKT0_PS4_,comdat
.Lfunc_end30:
	.size	_Z6kernelI6reduceILN6hipcub20BlockReduceAlgorithmE0EEhLj64ELj3ELj100EEvPKT0_PS4_, .Lfunc_end30-_Z6kernelI6reduceILN6hipcub20BlockReduceAlgorithmE0EEhLj64ELj3ELj100EEvPKT0_PS4_
                                        ; -- End function
	.section	.AMDGPU.csdata,"",@progbits
; Kernel info:
; codeLenInByte = 588
; NumSgprs: 18
; NumVgprs: 9
; ScratchSize: 0
; MemoryBound: 0
; FloatMode: 240
; IeeeMode: 1
; LDSByteSize: 2 bytes/workgroup (compile time only)
; SGPRBlocks: 2
; VGPRBlocks: 1
; NumSGPRsForWavesPerEU: 18
; NumVGPRsForWavesPerEU: 9
; Occupancy: 16
; WaveLimiterHint : 0
; COMPUTE_PGM_RSRC2:SCRATCH_EN: 0
; COMPUTE_PGM_RSRC2:USER_SGPR: 15
; COMPUTE_PGM_RSRC2:TRAP_HANDLER: 0
; COMPUTE_PGM_RSRC2:TGID_X_EN: 1
; COMPUTE_PGM_RSRC2:TGID_Y_EN: 0
; COMPUTE_PGM_RSRC2:TGID_Z_EN: 0
; COMPUTE_PGM_RSRC2:TIDIG_COMP_CNT: 0
	.section	.text._Z6kernelI6reduceILN6hipcub20BlockReduceAlgorithmE0EEhLj64ELj4ELj100EEvPKT0_PS4_,"axG",@progbits,_Z6kernelI6reduceILN6hipcub20BlockReduceAlgorithmE0EEhLj64ELj4ELj100EEvPKT0_PS4_,comdat
	.protected	_Z6kernelI6reduceILN6hipcub20BlockReduceAlgorithmE0EEhLj64ELj4ELj100EEvPKT0_PS4_ ; -- Begin function _Z6kernelI6reduceILN6hipcub20BlockReduceAlgorithmE0EEhLj64ELj4ELj100EEvPKT0_PS4_
	.globl	_Z6kernelI6reduceILN6hipcub20BlockReduceAlgorithmE0EEhLj64ELj4ELj100EEvPKT0_PS4_
	.p2align	8
	.type	_Z6kernelI6reduceILN6hipcub20BlockReduceAlgorithmE0EEhLj64ELj4ELj100EEvPKT0_PS4_,@function
_Z6kernelI6reduceILN6hipcub20BlockReduceAlgorithmE0EEhLj64ELj4ELj100EEvPKT0_PS4_: ; @_Z6kernelI6reduceILN6hipcub20BlockReduceAlgorithmE0EEhLj64ELj4ELj100EEvPKT0_PS4_
; %bb.0:
	s_clause 0x1
	s_load_b32 s4, s[0:1], 0x1c
	s_load_b128 s[0:3], s[0:1], 0x0
	v_mbcnt_lo_u32_b32 v5, -1, 0
	v_mov_b32_e32 v2, 0x7c
	v_lshrrev_b32_e32 v3, 5, v0
	s_delay_alu instid0(VALU_DEP_3) | instskip(SKIP_4) | instid1(SALU_CYCLE_1)
	v_cmp_eq_u32_e32 vcc_lo, 0, v5
	v_and_b32_e32 v4, 1, v5
	v_lshl_or_b32 v5, v5, 2, 4
	s_waitcnt lgkmcnt(0)
	s_and_b32 s4, s4, 0xffff
	s_mul_i32 s4, s15, s4
	s_delay_alu instid0(SALU_CYCLE_1)
	v_add_lshl_u32 v1, s4, v0, 2
	global_load_b32 v1, v1, s[0:1]
	v_cmp_gt_u32_e64 s0, 32, v0
	s_movk_i32 s1, 0x64
	s_branch .LBB31_2
.LBB31_1:                               ;   in Loop: Header=BB31_2 Depth=1
	s_or_b32 exec_lo, exec_lo, s4
	s_delay_alu instid0(VALU_DEP_1) | instskip(SKIP_1) | instid1(SALU_CYCLE_1)
	v_perm_b32 v1, v6, v1, 0x3020104
	s_add_i32 s1, s1, -1
	s_cmp_eq_u32 s1, 0
	s_cbranch_scc1 .LBB31_6
.LBB31_2:                               ; =>This Inner Loop Header: Depth=1
	s_waitcnt vmcnt(0)
	v_lshrrev_b32_e32 v6, 8, v1
	v_lshrrev_b32_e32 v7, 16, v1
	s_delay_alu instid0(VALU_DEP_2) | instskip(NEXT) | instid1(VALU_DEP_1)
	v_add_nc_u16 v6, v6, v1
	v_add_nc_u16 v6, v6, v7
	v_lshrrev_b32_e32 v7, 24, v1
	s_delay_alu instid0(VALU_DEP_1) | instskip(NEXT) | instid1(VALU_DEP_1)
	v_add_nc_u16 v6, v6, v7
	v_and_b32_e32 v7, 0xff, v6
	s_delay_alu instid0(VALU_DEP_1) | instskip(NEXT) | instid1(VALU_DEP_1)
	v_mov_b32_dpp v7, v7 quad_perm:[1,0,3,2] row_mask:0xf bank_mask:0xf
	v_add_nc_u16 v6, v6, v7
	s_delay_alu instid0(VALU_DEP_1) | instskip(NEXT) | instid1(VALU_DEP_1)
	v_and_b32_e32 v7, 0xff, v6
	v_mov_b32_dpp v7, v7 quad_perm:[2,3,0,1] row_mask:0xf bank_mask:0xf
	s_delay_alu instid0(VALU_DEP_1) | instskip(NEXT) | instid1(VALU_DEP_1)
	v_add_nc_u16 v6, v6, v7
	v_and_b32_e32 v7, 0xff, v6
	s_delay_alu instid0(VALU_DEP_1) | instskip(NEXT) | instid1(VALU_DEP_1)
	v_mov_b32_dpp v7, v7 row_ror:4 row_mask:0xf bank_mask:0xf
	v_add_nc_u16 v6, v6, v7
	s_delay_alu instid0(VALU_DEP_1) | instskip(NEXT) | instid1(VALU_DEP_1)
	v_and_b32_e32 v7, 0xff, v6
	v_mov_b32_dpp v7, v7 row_ror:8 row_mask:0xf bank_mask:0xf
	s_delay_alu instid0(VALU_DEP_1) | instskip(NEXT) | instid1(VALU_DEP_1)
	v_add_nc_u16 v6, v6, v7
	v_and_b32_e32 v7, 0xff, v6
	ds_swizzle_b32 v7, v7 offset:swizzle(BROADCAST,32,15)
	s_waitcnt lgkmcnt(0)
	v_add_nc_u16 v6, v6, v7
	s_delay_alu instid0(VALU_DEP_1)
	v_and_b32_e32 v6, 0xff, v6
	ds_bpermute_b32 v6, v2, v6
	s_and_saveexec_b32 s4, vcc_lo
	s_cbranch_execz .LBB31_4
; %bb.3:                                ;   in Loop: Header=BB31_2 Depth=1
	s_waitcnt lgkmcnt(0)
	ds_store_b8 v3, v6
.LBB31_4:                               ;   in Loop: Header=BB31_2 Depth=1
	s_or_b32 exec_lo, exec_lo, s4
	s_waitcnt lgkmcnt(0)
	s_barrier
	buffer_gl0_inv
	s_and_saveexec_b32 s4, s0
	s_cbranch_execz .LBB31_1
; %bb.5:                                ;   in Loop: Header=BB31_2 Depth=1
	ds_load_u8 v6, v4
	s_waitcnt lgkmcnt(0)
	v_and_b32_e32 v7, 0xff, v6
	ds_bpermute_b32 v7, v5, v7
	s_waitcnt lgkmcnt(0)
	v_add_nc_u16 v6, v6, v7
	s_branch .LBB31_1
.LBB31_6:
	s_mov_b32 s0, exec_lo
	v_cmpx_eq_u32_e32 0, v0
	s_cbranch_execz .LBB31_8
; %bb.7:
	v_mov_b32_e32 v0, s15
	global_store_b8 v0, v6, s[2:3]
.LBB31_8:
	s_nop 0
	s_sendmsg sendmsg(MSG_DEALLOC_VGPRS)
	s_endpgm
	.section	.rodata,"a",@progbits
	.p2align	6, 0x0
	.amdhsa_kernel _Z6kernelI6reduceILN6hipcub20BlockReduceAlgorithmE0EEhLj64ELj4ELj100EEvPKT0_PS4_
		.amdhsa_group_segment_fixed_size 2
		.amdhsa_private_segment_fixed_size 0
		.amdhsa_kernarg_size 272
		.amdhsa_user_sgpr_count 15
		.amdhsa_user_sgpr_dispatch_ptr 0
		.amdhsa_user_sgpr_queue_ptr 0
		.amdhsa_user_sgpr_kernarg_segment_ptr 1
		.amdhsa_user_sgpr_dispatch_id 0
		.amdhsa_user_sgpr_private_segment_size 0
		.amdhsa_wavefront_size32 1
		.amdhsa_uses_dynamic_stack 0
		.amdhsa_enable_private_segment 0
		.amdhsa_system_sgpr_workgroup_id_x 1
		.amdhsa_system_sgpr_workgroup_id_y 0
		.amdhsa_system_sgpr_workgroup_id_z 0
		.amdhsa_system_sgpr_workgroup_info 0
		.amdhsa_system_vgpr_workitem_id 0
		.amdhsa_next_free_vgpr 8
		.amdhsa_next_free_sgpr 16
		.amdhsa_reserve_vcc 1
		.amdhsa_float_round_mode_32 0
		.amdhsa_float_round_mode_16_64 0
		.amdhsa_float_denorm_mode_32 3
		.amdhsa_float_denorm_mode_16_64 3
		.amdhsa_dx10_clamp 1
		.amdhsa_ieee_mode 1
		.amdhsa_fp16_overflow 0
		.amdhsa_workgroup_processor_mode 1
		.amdhsa_memory_ordered 1
		.amdhsa_forward_progress 0
		.amdhsa_shared_vgpr_count 0
		.amdhsa_exception_fp_ieee_invalid_op 0
		.amdhsa_exception_fp_denorm_src 0
		.amdhsa_exception_fp_ieee_div_zero 0
		.amdhsa_exception_fp_ieee_overflow 0
		.amdhsa_exception_fp_ieee_underflow 0
		.amdhsa_exception_fp_ieee_inexact 0
		.amdhsa_exception_int_div_zero 0
	.end_amdhsa_kernel
	.section	.text._Z6kernelI6reduceILN6hipcub20BlockReduceAlgorithmE0EEhLj64ELj4ELj100EEvPKT0_PS4_,"axG",@progbits,_Z6kernelI6reduceILN6hipcub20BlockReduceAlgorithmE0EEhLj64ELj4ELj100EEvPKT0_PS4_,comdat
.Lfunc_end31:
	.size	_Z6kernelI6reduceILN6hipcub20BlockReduceAlgorithmE0EEhLj64ELj4ELj100EEvPKT0_PS4_, .Lfunc_end31-_Z6kernelI6reduceILN6hipcub20BlockReduceAlgorithmE0EEhLj64ELj4ELj100EEvPKT0_PS4_
                                        ; -- End function
	.section	.AMDGPU.csdata,"",@progbits
; Kernel info:
; codeLenInByte = 488
; NumSgprs: 18
; NumVgprs: 8
; ScratchSize: 0
; MemoryBound: 0
; FloatMode: 240
; IeeeMode: 1
; LDSByteSize: 2 bytes/workgroup (compile time only)
; SGPRBlocks: 2
; VGPRBlocks: 0
; NumSGPRsForWavesPerEU: 18
; NumVGPRsForWavesPerEU: 8
; Occupancy: 16
; WaveLimiterHint : 0
; COMPUTE_PGM_RSRC2:SCRATCH_EN: 0
; COMPUTE_PGM_RSRC2:USER_SGPR: 15
; COMPUTE_PGM_RSRC2:TRAP_HANDLER: 0
; COMPUTE_PGM_RSRC2:TGID_X_EN: 1
; COMPUTE_PGM_RSRC2:TGID_Y_EN: 0
; COMPUTE_PGM_RSRC2:TGID_Z_EN: 0
; COMPUTE_PGM_RSRC2:TIDIG_COMP_CNT: 0
	.section	.text._Z6kernelI6reduceILN6hipcub20BlockReduceAlgorithmE0EEhLj64ELj8ELj100EEvPKT0_PS4_,"axG",@progbits,_Z6kernelI6reduceILN6hipcub20BlockReduceAlgorithmE0EEhLj64ELj8ELj100EEvPKT0_PS4_,comdat
	.protected	_Z6kernelI6reduceILN6hipcub20BlockReduceAlgorithmE0EEhLj64ELj8ELj100EEvPKT0_PS4_ ; -- Begin function _Z6kernelI6reduceILN6hipcub20BlockReduceAlgorithmE0EEhLj64ELj8ELj100EEvPKT0_PS4_
	.globl	_Z6kernelI6reduceILN6hipcub20BlockReduceAlgorithmE0EEhLj64ELj8ELj100EEvPKT0_PS4_
	.p2align	8
	.type	_Z6kernelI6reduceILN6hipcub20BlockReduceAlgorithmE0EEhLj64ELj8ELj100EEvPKT0_PS4_,@function
_Z6kernelI6reduceILN6hipcub20BlockReduceAlgorithmE0EEhLj64ELj8ELj100EEvPKT0_PS4_: ; @_Z6kernelI6reduceILN6hipcub20BlockReduceAlgorithmE0EEhLj64ELj8ELj100EEvPKT0_PS4_
; %bb.0:
	s_clause 0x1
	s_load_b32 s4, s[0:1], 0x1c
	s_load_b128 s[0:3], s[0:1], 0x0
	v_mbcnt_lo_u32_b32 v6, -1, 0
	v_mov_b32_e32 v3, 0x7c
	v_lshrrev_b32_e32 v4, 5, v0
	s_delay_alu instid0(VALU_DEP_3) | instskip(SKIP_4) | instid1(SALU_CYCLE_1)
	v_cmp_eq_u32_e32 vcc_lo, 0, v6
	v_and_b32_e32 v5, 1, v6
	v_lshl_or_b32 v6, v6, 2, 4
	s_waitcnt lgkmcnt(0)
	s_and_b32 s4, s4, 0xffff
	s_mul_i32 s4, s15, s4
	s_delay_alu instid0(SALU_CYCLE_1)
	v_add_lshl_u32 v1, s4, v0, 3
	global_load_b64 v[1:2], v1, s[0:1]
	v_cmp_gt_u32_e64 s0, 32, v0
	s_movk_i32 s1, 0x64
	s_branch .LBB32_2
.LBB32_1:                               ;   in Loop: Header=BB32_2 Depth=1
	s_or_b32 exec_lo, exec_lo, s4
	s_delay_alu instid0(VALU_DEP_1) | instskip(SKIP_1) | instid1(SALU_CYCLE_1)
	v_perm_b32 v1, v7, v1, 0x3020104
	s_add_i32 s1, s1, -1
	s_cmp_eq_u32 s1, 0
	s_cbranch_scc1 .LBB32_6
.LBB32_2:                               ; =>This Inner Loop Header: Depth=1
	s_waitcnt vmcnt(0)
	v_lshrrev_b32_e32 v7, 8, v1
	v_lshrrev_b32_e32 v8, 16, v1
	;; [unrolled: 1-line block ×3, first 2 shown]
	s_delay_alu instid0(VALU_DEP_3) | instskip(NEXT) | instid1(VALU_DEP_1)
	v_add_nc_u16 v7, v7, v1
	v_add_nc_u16 v7, v7, v8
	v_lshrrev_b32_e32 v8, 8, v2
	s_delay_alu instid0(VALU_DEP_2) | instskip(SKIP_1) | instid1(VALU_DEP_2)
	v_add_nc_u16 v7, v7, v9
	v_lshrrev_b32_e32 v9, 16, v2
	v_add_nc_u16 v7, v7, v2
	s_delay_alu instid0(VALU_DEP_1) | instskip(SKIP_1) | instid1(VALU_DEP_2)
	v_add_nc_u16 v7, v7, v8
	v_lshrrev_b32_e32 v8, 24, v2
	v_add_nc_u16 v7, v7, v9
	s_delay_alu instid0(VALU_DEP_1) | instskip(NEXT) | instid1(VALU_DEP_1)
	v_add_nc_u16 v7, v7, v8
	v_and_b32_e32 v8, 0xff, v7
	s_delay_alu instid0(VALU_DEP_1) | instskip(NEXT) | instid1(VALU_DEP_1)
	v_mov_b32_dpp v8, v8 quad_perm:[1,0,3,2] row_mask:0xf bank_mask:0xf
	v_add_nc_u16 v7, v7, v8
	s_delay_alu instid0(VALU_DEP_1) | instskip(NEXT) | instid1(VALU_DEP_1)
	v_and_b32_e32 v8, 0xff, v7
	v_mov_b32_dpp v8, v8 quad_perm:[2,3,0,1] row_mask:0xf bank_mask:0xf
	s_delay_alu instid0(VALU_DEP_1) | instskip(NEXT) | instid1(VALU_DEP_1)
	v_add_nc_u16 v7, v7, v8
	v_and_b32_e32 v8, 0xff, v7
	s_delay_alu instid0(VALU_DEP_1) | instskip(NEXT) | instid1(VALU_DEP_1)
	v_mov_b32_dpp v8, v8 row_ror:4 row_mask:0xf bank_mask:0xf
	v_add_nc_u16 v7, v7, v8
	s_delay_alu instid0(VALU_DEP_1) | instskip(NEXT) | instid1(VALU_DEP_1)
	v_and_b32_e32 v8, 0xff, v7
	v_mov_b32_dpp v8, v8 row_ror:8 row_mask:0xf bank_mask:0xf
	s_delay_alu instid0(VALU_DEP_1) | instskip(NEXT) | instid1(VALU_DEP_1)
	v_add_nc_u16 v7, v7, v8
	v_and_b32_e32 v8, 0xff, v7
	ds_swizzle_b32 v8, v8 offset:swizzle(BROADCAST,32,15)
	s_waitcnt lgkmcnt(0)
	v_add_nc_u16 v7, v7, v8
	s_delay_alu instid0(VALU_DEP_1)
	v_and_b32_e32 v7, 0xff, v7
	ds_bpermute_b32 v7, v3, v7
	s_and_saveexec_b32 s4, vcc_lo
	s_cbranch_execz .LBB32_4
; %bb.3:                                ;   in Loop: Header=BB32_2 Depth=1
	s_waitcnt lgkmcnt(0)
	ds_store_b8 v4, v7
.LBB32_4:                               ;   in Loop: Header=BB32_2 Depth=1
	s_or_b32 exec_lo, exec_lo, s4
	s_waitcnt lgkmcnt(0)
	s_barrier
	buffer_gl0_inv
	s_and_saveexec_b32 s4, s0
	s_cbranch_execz .LBB32_1
; %bb.5:                                ;   in Loop: Header=BB32_2 Depth=1
	ds_load_u8 v7, v5
	s_waitcnt lgkmcnt(0)
	v_and_b32_e32 v8, 0xff, v7
	ds_bpermute_b32 v8, v6, v8
	s_waitcnt lgkmcnt(0)
	v_add_nc_u16 v7, v7, v8
	s_branch .LBB32_1
.LBB32_6:
	s_mov_b32 s0, exec_lo
	v_cmpx_eq_u32_e32 0, v0
	s_cbranch_execz .LBB32_8
; %bb.7:
	v_mov_b32_e32 v0, s15
	global_store_b8 v0, v7, s[2:3]
.LBB32_8:
	s_nop 0
	s_sendmsg sendmsg(MSG_DEALLOC_VGPRS)
	s_endpgm
	.section	.rodata,"a",@progbits
	.p2align	6, 0x0
	.amdhsa_kernel _Z6kernelI6reduceILN6hipcub20BlockReduceAlgorithmE0EEhLj64ELj8ELj100EEvPKT0_PS4_
		.amdhsa_group_segment_fixed_size 2
		.amdhsa_private_segment_fixed_size 0
		.amdhsa_kernarg_size 272
		.amdhsa_user_sgpr_count 15
		.amdhsa_user_sgpr_dispatch_ptr 0
		.amdhsa_user_sgpr_queue_ptr 0
		.amdhsa_user_sgpr_kernarg_segment_ptr 1
		.amdhsa_user_sgpr_dispatch_id 0
		.amdhsa_user_sgpr_private_segment_size 0
		.amdhsa_wavefront_size32 1
		.amdhsa_uses_dynamic_stack 0
		.amdhsa_enable_private_segment 0
		.amdhsa_system_sgpr_workgroup_id_x 1
		.amdhsa_system_sgpr_workgroup_id_y 0
		.amdhsa_system_sgpr_workgroup_id_z 0
		.amdhsa_system_sgpr_workgroup_info 0
		.amdhsa_system_vgpr_workitem_id 0
		.amdhsa_next_free_vgpr 10
		.amdhsa_next_free_sgpr 16
		.amdhsa_reserve_vcc 1
		.amdhsa_float_round_mode_32 0
		.amdhsa_float_round_mode_16_64 0
		.amdhsa_float_denorm_mode_32 3
		.amdhsa_float_denorm_mode_16_64 3
		.amdhsa_dx10_clamp 1
		.amdhsa_ieee_mode 1
		.amdhsa_fp16_overflow 0
		.amdhsa_workgroup_processor_mode 1
		.amdhsa_memory_ordered 1
		.amdhsa_forward_progress 0
		.amdhsa_shared_vgpr_count 0
		.amdhsa_exception_fp_ieee_invalid_op 0
		.amdhsa_exception_fp_denorm_src 0
		.amdhsa_exception_fp_ieee_div_zero 0
		.amdhsa_exception_fp_ieee_overflow 0
		.amdhsa_exception_fp_ieee_underflow 0
		.amdhsa_exception_fp_ieee_inexact 0
		.amdhsa_exception_int_div_zero 0
	.end_amdhsa_kernel
	.section	.text._Z6kernelI6reduceILN6hipcub20BlockReduceAlgorithmE0EEhLj64ELj8ELj100EEvPKT0_PS4_,"axG",@progbits,_Z6kernelI6reduceILN6hipcub20BlockReduceAlgorithmE0EEhLj64ELj8ELj100EEvPKT0_PS4_,comdat
.Lfunc_end32:
	.size	_Z6kernelI6reduceILN6hipcub20BlockReduceAlgorithmE0EEhLj64ELj8ELj100EEvPKT0_PS4_, .Lfunc_end32-_Z6kernelI6reduceILN6hipcub20BlockReduceAlgorithmE0EEhLj64ELj8ELj100EEvPKT0_PS4_
                                        ; -- End function
	.section	.AMDGPU.csdata,"",@progbits
; Kernel info:
; codeLenInByte = 540
; NumSgprs: 18
; NumVgprs: 10
; ScratchSize: 0
; MemoryBound: 0
; FloatMode: 240
; IeeeMode: 1
; LDSByteSize: 2 bytes/workgroup (compile time only)
; SGPRBlocks: 2
; VGPRBlocks: 1
; NumSGPRsForWavesPerEU: 18
; NumVGPRsForWavesPerEU: 10
; Occupancy: 16
; WaveLimiterHint : 0
; COMPUTE_PGM_RSRC2:SCRATCH_EN: 0
; COMPUTE_PGM_RSRC2:USER_SGPR: 15
; COMPUTE_PGM_RSRC2:TRAP_HANDLER: 0
; COMPUTE_PGM_RSRC2:TGID_X_EN: 1
; COMPUTE_PGM_RSRC2:TGID_Y_EN: 0
; COMPUTE_PGM_RSRC2:TGID_Z_EN: 0
; COMPUTE_PGM_RSRC2:TIDIG_COMP_CNT: 0
	.section	.text._Z6kernelI6reduceILN6hipcub20BlockReduceAlgorithmE0EEhLj64ELj11ELj100EEvPKT0_PS4_,"axG",@progbits,_Z6kernelI6reduceILN6hipcub20BlockReduceAlgorithmE0EEhLj64ELj11ELj100EEvPKT0_PS4_,comdat
	.protected	_Z6kernelI6reduceILN6hipcub20BlockReduceAlgorithmE0EEhLj64ELj11ELj100EEvPKT0_PS4_ ; -- Begin function _Z6kernelI6reduceILN6hipcub20BlockReduceAlgorithmE0EEhLj64ELj11ELj100EEvPKT0_PS4_
	.globl	_Z6kernelI6reduceILN6hipcub20BlockReduceAlgorithmE0EEhLj64ELj11ELj100EEvPKT0_PS4_
	.p2align	8
	.type	_Z6kernelI6reduceILN6hipcub20BlockReduceAlgorithmE0EEhLj64ELj11ELj100EEvPKT0_PS4_,@function
_Z6kernelI6reduceILN6hipcub20BlockReduceAlgorithmE0EEhLj64ELj11ELj100EEvPKT0_PS4_: ; @_Z6kernelI6reduceILN6hipcub20BlockReduceAlgorithmE0EEhLj64ELj11ELj100EEvPKT0_PS4_
; %bb.0:
	s_load_b32 s2, s[0:1], 0x1c
	v_mbcnt_lo_u32_b32 v13, -1, 0
	s_delay_alu instid0(VALU_DEP_1) | instskip(SKIP_2) | instid1(SALU_CYCLE_1)
	v_cmp_eq_u32_e32 vcc_lo, 0, v13
	s_waitcnt lgkmcnt(0)
	s_and_b32 s2, s2, 0xffff
	v_mad_u64_u32 v[1:2], null, s15, s2, v[0:1]
	s_load_b128 s[0:3], s[0:1], 0x0
	s_delay_alu instid0(VALU_DEP_1) | instskip(NEXT) | instid1(VALU_DEP_1)
	v_mul_lo_u32 v1, v1, 11
	v_add_nc_u32_e32 v2, 1, v1
	v_add_nc_u32_e32 v4, 3, v1
	;; [unrolled: 1-line block ×7, first 2 shown]
	s_waitcnt lgkmcnt(0)
	s_clause 0x7
	global_load_u8 v9, v2, s[0:1]
	global_load_u8 v10, v4, s[0:1]
	;; [unrolled: 1-line block ×8, first 2 shown]
	v_add_nc_u32_e32 v2, 8, v1
	v_add_nc_u32_e32 v3, 9, v1
	;; [unrolled: 1-line block ×3, first 2 shown]
	s_clause 0x2
	global_load_u8 v1, v2, s[0:1]
	global_load_u8 v2, v3, s[0:1]
	;; [unrolled: 1-line block ×3, first 2 shown]
	v_mov_b32_e32 v4, 0x7c
	v_cmp_gt_u32_e64 s0, 32, v0
	s_movk_i32 s1, 0x64
	s_waitcnt vmcnt(10)
	v_lshlrev_b16 v9, 8, v9
	s_waitcnt vmcnt(9)
	v_lshlrev_b16 v10, 8, v10
	;; [unrolled: 2-line block ×4, first 2 shown]
	s_waitcnt vmcnt(6)
	v_or_b32_e32 v9, v11, v9
	s_waitcnt vmcnt(5)
	v_or_b32_e32 v10, v12, v10
	;; [unrolled: 2-line block ×4, first 2 shown]
	v_lshl_or_b32 v7, v13, 2, 4
	v_and_b32_e32 v8, 0xffff, v9
	v_lshlrev_b32_e32 v9, 16, v10
	v_and_b32_e32 v10, 0xffff, v5
	v_lshlrev_b32_e32 v11, 16, v6
	v_lshrrev_b32_e32 v5, 5, v0
	v_and_b32_e32 v6, 1, v13
	v_or_b32_e32 v8, v8, v9
	s_delay_alu instid0(VALU_DEP_4)
	v_or_b32_e32 v9, v10, v11
	s_branch .LBB33_2
.LBB33_1:                               ;   in Loop: Header=BB33_2 Depth=1
	s_or_b32 exec_lo, exec_lo, s4
	s_delay_alu instid0(VALU_DEP_1) | instskip(SKIP_1) | instid1(SALU_CYCLE_1)
	v_perm_b32 v8, v10, v8, 0x3020104
	s_add_i32 s1, s1, -1
	s_cmp_eq_u32 s1, 0
	s_cbranch_scc1 .LBB33_6
.LBB33_2:                               ; =>This Inner Loop Header: Depth=1
	s_delay_alu instid0(VALU_DEP_1) | instskip(SKIP_2) | instid1(VALU_DEP_3)
	v_lshrrev_b32_e32 v10, 8, v8
	v_lshrrev_b32_e32 v11, 16, v8
	v_lshrrev_b32_e32 v12, 24, v8
	v_add_nc_u16 v10, v10, v8
	s_delay_alu instid0(VALU_DEP_1) | instskip(SKIP_1) | instid1(VALU_DEP_2)
	v_add_nc_u16 v10, v10, v11
	v_lshrrev_b32_e32 v11, 8, v9
	v_add_nc_u16 v10, v10, v12
	v_lshrrev_b32_e32 v12, 16, v9
	s_delay_alu instid0(VALU_DEP_2) | instskip(NEXT) | instid1(VALU_DEP_1)
	v_add_nc_u16 v10, v10, v9
	v_add_nc_u16 v10, v10, v11
	v_lshrrev_b32_e32 v11, 24, v9
	s_delay_alu instid0(VALU_DEP_2) | instskip(NEXT) | instid1(VALU_DEP_1)
	v_add_nc_u16 v10, v10, v12
	v_add_nc_u16 v10, v10, v11
	s_waitcnt vmcnt(2)
	s_delay_alu instid0(VALU_DEP_1) | instskip(SKIP_1) | instid1(VALU_DEP_1)
	v_add_nc_u16 v10, v10, v1
	s_waitcnt vmcnt(1)
	v_add_nc_u16 v10, v10, v2
	s_waitcnt vmcnt(0)
	s_delay_alu instid0(VALU_DEP_1) | instskip(NEXT) | instid1(VALU_DEP_1)
	v_add_nc_u16 v10, v10, v3
	v_and_b32_e32 v11, 0xff, v10
	s_delay_alu instid0(VALU_DEP_1) | instskip(NEXT) | instid1(VALU_DEP_1)
	v_mov_b32_dpp v11, v11 quad_perm:[1,0,3,2] row_mask:0xf bank_mask:0xf
	v_add_nc_u16 v10, v10, v11
	s_delay_alu instid0(VALU_DEP_1) | instskip(NEXT) | instid1(VALU_DEP_1)
	v_and_b32_e32 v11, 0xff, v10
	v_mov_b32_dpp v11, v11 quad_perm:[2,3,0,1] row_mask:0xf bank_mask:0xf
	s_delay_alu instid0(VALU_DEP_1) | instskip(NEXT) | instid1(VALU_DEP_1)
	v_add_nc_u16 v10, v10, v11
	v_and_b32_e32 v11, 0xff, v10
	s_delay_alu instid0(VALU_DEP_1) | instskip(NEXT) | instid1(VALU_DEP_1)
	v_mov_b32_dpp v11, v11 row_ror:4 row_mask:0xf bank_mask:0xf
	v_add_nc_u16 v10, v10, v11
	s_delay_alu instid0(VALU_DEP_1) | instskip(NEXT) | instid1(VALU_DEP_1)
	v_and_b32_e32 v11, 0xff, v10
	v_mov_b32_dpp v11, v11 row_ror:8 row_mask:0xf bank_mask:0xf
	s_delay_alu instid0(VALU_DEP_1) | instskip(NEXT) | instid1(VALU_DEP_1)
	v_add_nc_u16 v10, v10, v11
	v_and_b32_e32 v11, 0xff, v10
	ds_swizzle_b32 v11, v11 offset:swizzle(BROADCAST,32,15)
	s_waitcnt lgkmcnt(0)
	v_add_nc_u16 v10, v10, v11
	s_delay_alu instid0(VALU_DEP_1)
	v_and_b32_e32 v10, 0xff, v10
	ds_bpermute_b32 v10, v4, v10
	s_and_saveexec_b32 s4, vcc_lo
	s_cbranch_execz .LBB33_4
; %bb.3:                                ;   in Loop: Header=BB33_2 Depth=1
	s_waitcnt lgkmcnt(0)
	ds_store_b8 v5, v10
.LBB33_4:                               ;   in Loop: Header=BB33_2 Depth=1
	s_or_b32 exec_lo, exec_lo, s4
	s_waitcnt lgkmcnt(0)
	s_barrier
	buffer_gl0_inv
	s_and_saveexec_b32 s4, s0
	s_cbranch_execz .LBB33_1
; %bb.5:                                ;   in Loop: Header=BB33_2 Depth=1
	ds_load_u8 v10, v6
	s_waitcnt lgkmcnt(0)
	v_and_b32_e32 v11, 0xff, v10
	ds_bpermute_b32 v11, v7, v11
	s_waitcnt lgkmcnt(0)
	v_add_nc_u16 v10, v10, v11
	s_branch .LBB33_1
.LBB33_6:
	s_mov_b32 s0, exec_lo
	v_cmpx_eq_u32_e32 0, v0
	s_cbranch_execz .LBB33_8
; %bb.7:
	v_mov_b32_e32 v0, s15
	global_store_b8 v0, v10, s[2:3]
.LBB33_8:
	s_nop 0
	s_sendmsg sendmsg(MSG_DEALLOC_VGPRS)
	s_endpgm
	.section	.rodata,"a",@progbits
	.p2align	6, 0x0
	.amdhsa_kernel _Z6kernelI6reduceILN6hipcub20BlockReduceAlgorithmE0EEhLj64ELj11ELj100EEvPKT0_PS4_
		.amdhsa_group_segment_fixed_size 2
		.amdhsa_private_segment_fixed_size 0
		.amdhsa_kernarg_size 272
		.amdhsa_user_sgpr_count 15
		.amdhsa_user_sgpr_dispatch_ptr 0
		.amdhsa_user_sgpr_queue_ptr 0
		.amdhsa_user_sgpr_kernarg_segment_ptr 1
		.amdhsa_user_sgpr_dispatch_id 0
		.amdhsa_user_sgpr_private_segment_size 0
		.amdhsa_wavefront_size32 1
		.amdhsa_uses_dynamic_stack 0
		.amdhsa_enable_private_segment 0
		.amdhsa_system_sgpr_workgroup_id_x 1
		.amdhsa_system_sgpr_workgroup_id_y 0
		.amdhsa_system_sgpr_workgroup_id_z 0
		.amdhsa_system_sgpr_workgroup_info 0
		.amdhsa_system_vgpr_workitem_id 0
		.amdhsa_next_free_vgpr 14
		.amdhsa_next_free_sgpr 16
		.amdhsa_reserve_vcc 1
		.amdhsa_float_round_mode_32 0
		.amdhsa_float_round_mode_16_64 0
		.amdhsa_float_denorm_mode_32 3
		.amdhsa_float_denorm_mode_16_64 3
		.amdhsa_dx10_clamp 1
		.amdhsa_ieee_mode 1
		.amdhsa_fp16_overflow 0
		.amdhsa_workgroup_processor_mode 1
		.amdhsa_memory_ordered 1
		.amdhsa_forward_progress 0
		.amdhsa_shared_vgpr_count 0
		.amdhsa_exception_fp_ieee_invalid_op 0
		.amdhsa_exception_fp_denorm_src 0
		.amdhsa_exception_fp_ieee_div_zero 0
		.amdhsa_exception_fp_ieee_overflow 0
		.amdhsa_exception_fp_ieee_underflow 0
		.amdhsa_exception_fp_ieee_inexact 0
		.amdhsa_exception_int_div_zero 0
	.end_amdhsa_kernel
	.section	.text._Z6kernelI6reduceILN6hipcub20BlockReduceAlgorithmE0EEhLj64ELj11ELj100EEvPKT0_PS4_,"axG",@progbits,_Z6kernelI6reduceILN6hipcub20BlockReduceAlgorithmE0EEhLj64ELj11ELj100EEvPKT0_PS4_,comdat
.Lfunc_end33:
	.size	_Z6kernelI6reduceILN6hipcub20BlockReduceAlgorithmE0EEhLj64ELj11ELj100EEvPKT0_PS4_, .Lfunc_end33-_Z6kernelI6reduceILN6hipcub20BlockReduceAlgorithmE0EEhLj64ELj11ELj100EEvPKT0_PS4_
                                        ; -- End function
	.section	.AMDGPU.csdata,"",@progbits
; Kernel info:
; codeLenInByte = 828
; NumSgprs: 18
; NumVgprs: 14
; ScratchSize: 0
; MemoryBound: 0
; FloatMode: 240
; IeeeMode: 1
; LDSByteSize: 2 bytes/workgroup (compile time only)
; SGPRBlocks: 2
; VGPRBlocks: 1
; NumSGPRsForWavesPerEU: 18
; NumVGPRsForWavesPerEU: 14
; Occupancy: 16
; WaveLimiterHint : 0
; COMPUTE_PGM_RSRC2:SCRATCH_EN: 0
; COMPUTE_PGM_RSRC2:USER_SGPR: 15
; COMPUTE_PGM_RSRC2:TRAP_HANDLER: 0
; COMPUTE_PGM_RSRC2:TGID_X_EN: 1
; COMPUTE_PGM_RSRC2:TGID_Y_EN: 0
; COMPUTE_PGM_RSRC2:TGID_Z_EN: 0
; COMPUTE_PGM_RSRC2:TIDIG_COMP_CNT: 0
	.section	.text._Z6kernelI6reduceILN6hipcub20BlockReduceAlgorithmE0EEhLj64ELj16ELj100EEvPKT0_PS4_,"axG",@progbits,_Z6kernelI6reduceILN6hipcub20BlockReduceAlgorithmE0EEhLj64ELj16ELj100EEvPKT0_PS4_,comdat
	.protected	_Z6kernelI6reduceILN6hipcub20BlockReduceAlgorithmE0EEhLj64ELj16ELj100EEvPKT0_PS4_ ; -- Begin function _Z6kernelI6reduceILN6hipcub20BlockReduceAlgorithmE0EEhLj64ELj16ELj100EEvPKT0_PS4_
	.globl	_Z6kernelI6reduceILN6hipcub20BlockReduceAlgorithmE0EEhLj64ELj16ELj100EEvPKT0_PS4_
	.p2align	8
	.type	_Z6kernelI6reduceILN6hipcub20BlockReduceAlgorithmE0EEhLj64ELj16ELj100EEvPKT0_PS4_,@function
_Z6kernelI6reduceILN6hipcub20BlockReduceAlgorithmE0EEhLj64ELj16ELj100EEvPKT0_PS4_: ; @_Z6kernelI6reduceILN6hipcub20BlockReduceAlgorithmE0EEhLj64ELj16ELj100EEvPKT0_PS4_
; %bb.0:
	s_clause 0x1
	s_load_b32 s4, s[0:1], 0x1c
	s_load_b128 s[0:3], s[0:1], 0x0
	v_mbcnt_lo_u32_b32 v8, -1, 0
	v_mov_b32_e32 v5, 0x7c
	v_lshrrev_b32_e32 v6, 5, v0
	s_delay_alu instid0(VALU_DEP_3) | instskip(SKIP_4) | instid1(SALU_CYCLE_1)
	v_cmp_eq_u32_e32 vcc_lo, 0, v8
	v_and_b32_e32 v7, 1, v8
	v_lshl_or_b32 v8, v8, 2, 4
	s_waitcnt lgkmcnt(0)
	s_and_b32 s4, s4, 0xffff
	s_mul_i32 s4, s15, s4
	s_delay_alu instid0(SALU_CYCLE_1)
	v_add_lshl_u32 v1, s4, v0, 4
	global_load_b128 v[1:4], v1, s[0:1]
	v_cmp_gt_u32_e64 s0, 32, v0
	s_movk_i32 s1, 0x64
	s_branch .LBB34_2
.LBB34_1:                               ;   in Loop: Header=BB34_2 Depth=1
	s_or_b32 exec_lo, exec_lo, s4
	s_delay_alu instid0(VALU_DEP_1) | instskip(SKIP_1) | instid1(SALU_CYCLE_1)
	v_perm_b32 v1, v9, v1, 0x3020104
	s_add_i32 s1, s1, -1
	s_cmp_eq_u32 s1, 0
	s_cbranch_scc1 .LBB34_6
.LBB34_2:                               ; =>This Inner Loop Header: Depth=1
	s_waitcnt vmcnt(0)
	v_lshrrev_b32_e32 v9, 8, v1
	v_lshrrev_b32_e32 v10, 16, v1
	;; [unrolled: 1-line block ×3, first 2 shown]
	s_delay_alu instid0(VALU_DEP_3) | instskip(NEXT) | instid1(VALU_DEP_1)
	v_add_nc_u16 v9, v9, v1
	v_add_nc_u16 v9, v9, v10
	v_lshrrev_b32_e32 v10, 8, v2
	s_delay_alu instid0(VALU_DEP_2) | instskip(SKIP_1) | instid1(VALU_DEP_2)
	v_add_nc_u16 v9, v9, v11
	v_lshrrev_b32_e32 v11, 16, v2
	v_add_nc_u16 v9, v9, v2
	s_delay_alu instid0(VALU_DEP_1) | instskip(SKIP_1) | instid1(VALU_DEP_2)
	v_add_nc_u16 v9, v9, v10
	v_lshrrev_b32_e32 v10, 24, v2
	v_add_nc_u16 v9, v9, v11
	v_lshrrev_b32_e32 v11, 16, v3
	s_delay_alu instid0(VALU_DEP_2) | instskip(SKIP_1) | instid1(VALU_DEP_2)
	v_add_nc_u16 v9, v9, v10
	v_lshrrev_b32_e32 v10, 8, v3
	v_add_nc_u16 v9, v9, v3
	s_delay_alu instid0(VALU_DEP_1) | instskip(SKIP_1) | instid1(VALU_DEP_2)
	v_add_nc_u16 v9, v9, v10
	v_lshrrev_b32_e32 v10, 24, v3
	;; [unrolled: 9-line block ×3, first 2 shown]
	v_add_nc_u16 v9, v9, v11
	s_delay_alu instid0(VALU_DEP_1) | instskip(NEXT) | instid1(VALU_DEP_1)
	v_add_nc_u16 v9, v9, v10
	v_and_b32_e32 v10, 0xff, v9
	s_delay_alu instid0(VALU_DEP_1) | instskip(NEXT) | instid1(VALU_DEP_1)
	v_mov_b32_dpp v10, v10 quad_perm:[1,0,3,2] row_mask:0xf bank_mask:0xf
	v_add_nc_u16 v9, v9, v10
	s_delay_alu instid0(VALU_DEP_1) | instskip(NEXT) | instid1(VALU_DEP_1)
	v_and_b32_e32 v10, 0xff, v9
	v_mov_b32_dpp v10, v10 quad_perm:[2,3,0,1] row_mask:0xf bank_mask:0xf
	s_delay_alu instid0(VALU_DEP_1) | instskip(NEXT) | instid1(VALU_DEP_1)
	v_add_nc_u16 v9, v9, v10
	v_and_b32_e32 v10, 0xff, v9
	s_delay_alu instid0(VALU_DEP_1) | instskip(NEXT) | instid1(VALU_DEP_1)
	v_mov_b32_dpp v10, v10 row_ror:4 row_mask:0xf bank_mask:0xf
	v_add_nc_u16 v9, v9, v10
	s_delay_alu instid0(VALU_DEP_1) | instskip(NEXT) | instid1(VALU_DEP_1)
	v_and_b32_e32 v10, 0xff, v9
	v_mov_b32_dpp v10, v10 row_ror:8 row_mask:0xf bank_mask:0xf
	s_delay_alu instid0(VALU_DEP_1) | instskip(NEXT) | instid1(VALU_DEP_1)
	v_add_nc_u16 v9, v9, v10
	v_and_b32_e32 v10, 0xff, v9
	ds_swizzle_b32 v10, v10 offset:swizzle(BROADCAST,32,15)
	s_waitcnt lgkmcnt(0)
	v_add_nc_u16 v9, v9, v10
	s_delay_alu instid0(VALU_DEP_1)
	v_and_b32_e32 v9, 0xff, v9
	ds_bpermute_b32 v9, v5, v9
	s_and_saveexec_b32 s4, vcc_lo
	s_cbranch_execz .LBB34_4
; %bb.3:                                ;   in Loop: Header=BB34_2 Depth=1
	s_waitcnt lgkmcnt(0)
	ds_store_b8 v6, v9
.LBB34_4:                               ;   in Loop: Header=BB34_2 Depth=1
	s_or_b32 exec_lo, exec_lo, s4
	s_waitcnt lgkmcnt(0)
	s_barrier
	buffer_gl0_inv
	s_and_saveexec_b32 s4, s0
	s_cbranch_execz .LBB34_1
; %bb.5:                                ;   in Loop: Header=BB34_2 Depth=1
	ds_load_u8 v9, v7
	s_waitcnt lgkmcnt(0)
	v_and_b32_e32 v10, 0xff, v9
	ds_bpermute_b32 v10, v8, v10
	s_waitcnt lgkmcnt(0)
	v_add_nc_u16 v9, v9, v10
	s_branch .LBB34_1
.LBB34_6:
	s_mov_b32 s0, exec_lo
	v_cmpx_eq_u32_e32 0, v0
	s_cbranch_execz .LBB34_8
; %bb.7:
	v_mov_b32_e32 v0, s15
	global_store_b8 v0, v9, s[2:3]
.LBB34_8:
	s_nop 0
	s_sendmsg sendmsg(MSG_DEALLOC_VGPRS)
	s_endpgm
	.section	.rodata,"a",@progbits
	.p2align	6, 0x0
	.amdhsa_kernel _Z6kernelI6reduceILN6hipcub20BlockReduceAlgorithmE0EEhLj64ELj16ELj100EEvPKT0_PS4_
		.amdhsa_group_segment_fixed_size 2
		.amdhsa_private_segment_fixed_size 0
		.amdhsa_kernarg_size 272
		.amdhsa_user_sgpr_count 15
		.amdhsa_user_sgpr_dispatch_ptr 0
		.amdhsa_user_sgpr_queue_ptr 0
		.amdhsa_user_sgpr_kernarg_segment_ptr 1
		.amdhsa_user_sgpr_dispatch_id 0
		.amdhsa_user_sgpr_private_segment_size 0
		.amdhsa_wavefront_size32 1
		.amdhsa_uses_dynamic_stack 0
		.amdhsa_enable_private_segment 0
		.amdhsa_system_sgpr_workgroup_id_x 1
		.amdhsa_system_sgpr_workgroup_id_y 0
		.amdhsa_system_sgpr_workgroup_id_z 0
		.amdhsa_system_sgpr_workgroup_info 0
		.amdhsa_system_vgpr_workitem_id 0
		.amdhsa_next_free_vgpr 12
		.amdhsa_next_free_sgpr 16
		.amdhsa_reserve_vcc 1
		.amdhsa_float_round_mode_32 0
		.amdhsa_float_round_mode_16_64 0
		.amdhsa_float_denorm_mode_32 3
		.amdhsa_float_denorm_mode_16_64 3
		.amdhsa_dx10_clamp 1
		.amdhsa_ieee_mode 1
		.amdhsa_fp16_overflow 0
		.amdhsa_workgroup_processor_mode 1
		.amdhsa_memory_ordered 1
		.amdhsa_forward_progress 0
		.amdhsa_shared_vgpr_count 0
		.amdhsa_exception_fp_ieee_invalid_op 0
		.amdhsa_exception_fp_denorm_src 0
		.amdhsa_exception_fp_ieee_div_zero 0
		.amdhsa_exception_fp_ieee_overflow 0
		.amdhsa_exception_fp_ieee_underflow 0
		.amdhsa_exception_fp_ieee_inexact 0
		.amdhsa_exception_int_div_zero 0
	.end_amdhsa_kernel
	.section	.text._Z6kernelI6reduceILN6hipcub20BlockReduceAlgorithmE0EEhLj64ELj16ELj100EEvPKT0_PS4_,"axG",@progbits,_Z6kernelI6reduceILN6hipcub20BlockReduceAlgorithmE0EEhLj64ELj16ELj100EEvPKT0_PS4_,comdat
.Lfunc_end34:
	.size	_Z6kernelI6reduceILN6hipcub20BlockReduceAlgorithmE0EEhLj64ELj16ELj100EEvPKT0_PS4_, .Lfunc_end34-_Z6kernelI6reduceILN6hipcub20BlockReduceAlgorithmE0EEhLj64ELj16ELj100EEvPKT0_PS4_
                                        ; -- End function
	.section	.AMDGPU.csdata,"",@progbits
; Kernel info:
; codeLenInByte = 644
; NumSgprs: 18
; NumVgprs: 12
; ScratchSize: 0
; MemoryBound: 0
; FloatMode: 240
; IeeeMode: 1
; LDSByteSize: 2 bytes/workgroup (compile time only)
; SGPRBlocks: 2
; VGPRBlocks: 1
; NumSGPRsForWavesPerEU: 18
; NumVGPRsForWavesPerEU: 12
; Occupancy: 16
; WaveLimiterHint : 0
; COMPUTE_PGM_RSRC2:SCRATCH_EN: 0
; COMPUTE_PGM_RSRC2:USER_SGPR: 15
; COMPUTE_PGM_RSRC2:TRAP_HANDLER: 0
; COMPUTE_PGM_RSRC2:TGID_X_EN: 1
; COMPUTE_PGM_RSRC2:TGID_Y_EN: 0
; COMPUTE_PGM_RSRC2:TGID_Z_EN: 0
; COMPUTE_PGM_RSRC2:TIDIG_COMP_CNT: 0
	.section	.text._Z6kernelI6reduceILN6hipcub20BlockReduceAlgorithmE0EEiLj256ELj1ELj100EEvPKT0_PS4_,"axG",@progbits,_Z6kernelI6reduceILN6hipcub20BlockReduceAlgorithmE0EEiLj256ELj1ELj100EEvPKT0_PS4_,comdat
	.protected	_Z6kernelI6reduceILN6hipcub20BlockReduceAlgorithmE0EEiLj256ELj1ELj100EEvPKT0_PS4_ ; -- Begin function _Z6kernelI6reduceILN6hipcub20BlockReduceAlgorithmE0EEiLj256ELj1ELj100EEvPKT0_PS4_
	.globl	_Z6kernelI6reduceILN6hipcub20BlockReduceAlgorithmE0EEiLj256ELj1ELj100EEvPKT0_PS4_
	.p2align	8
	.type	_Z6kernelI6reduceILN6hipcub20BlockReduceAlgorithmE0EEiLj256ELj1ELj100EEvPKT0_PS4_,@function
_Z6kernelI6reduceILN6hipcub20BlockReduceAlgorithmE0EEiLj256ELj1ELj100EEvPKT0_PS4_: ; @_Z6kernelI6reduceILN6hipcub20BlockReduceAlgorithmE0EEiLj256ELj1ELj100EEvPKT0_PS4_
; %bb.0:
	s_clause 0x1
	s_load_b32 s5, s[0:1], 0x1c
	s_load_b128 s[0:3], s[0:1], 0x0
	s_mov_b32 s4, s15
	v_mbcnt_lo_u32_b32 v7, -1, 0
	v_lshrrev_b32_e32 v3, 3, v0
	s_delay_alu instid0(VALU_DEP_2) | instskip(NEXT) | instid1(VALU_DEP_2)
	v_and_b32_e32 v4, 7, v7
	v_and_b32_e32 v3, 28, v3
	s_waitcnt lgkmcnt(0)
	s_and_b32 s5, s5, 0xffff
	s_delay_alu instid0(SALU_CYCLE_1) | instskip(SKIP_1) | instid1(VALU_DEP_1)
	v_mad_u64_u32 v[1:2], null, s4, s5, v[0:1]
	v_mov_b32_e32 v2, 0
	v_lshlrev_b64 v[1:2], 2, v[1:2]
	s_delay_alu instid0(VALU_DEP_1) | instskip(NEXT) | instid1(VALU_DEP_2)
	v_add_co_u32 v1, vcc_lo, s0, v1
	v_add_co_ci_u32_e32 v2, vcc_lo, s1, v2, vcc_lo
	v_cmp_gt_u32_e64 s1, 6, v4
	v_cmp_eq_u32_e32 vcc_lo, 0, v7
	v_cmp_gt_u32_e64 s0, 32, v0
	global_load_b32 v1, v[1:2], off
	v_mov_b32_e32 v2, 0x7c
	v_cndmask_b32_e64 v5, 0, 1, s1
	v_cmp_gt_u32_e64 s1, 4, v4
	s_delay_alu instid0(VALU_DEP_2) | instskip(NEXT) | instid1(VALU_DEP_2)
	v_lshlrev_b32_e32 v9, 1, v5
	v_cndmask_b32_e64 v6, 0, 1, s1
	v_cmp_ne_u32_e64 s1, 7, v4
	v_lshlrev_b32_e32 v4, 2, v4
	s_delay_alu instid0(VALU_DEP_3) | instskip(NEXT) | instid1(VALU_DEP_3)
	v_lshlrev_b32_e32 v10, 2, v6
	v_add_co_ci_u32_e64 v8, s1, 0, v7, s1
	v_add_lshl_u32 v6, v9, v7, 2
	s_movk_i32 s1, 0x64
	s_delay_alu instid0(VALU_DEP_3) | instskip(NEXT) | instid1(VALU_DEP_3)
	v_add_lshl_u32 v7, v10, v7, 2
	v_lshlrev_b32_e32 v5, 2, v8
	s_set_inst_prefetch_distance 0x1
	s_branch .LBB35_2
	.p2align	6
.LBB35_1:                               ;   in Loop: Header=BB35_2 Depth=1
	s_or_b32 exec_lo, exec_lo, s5
	s_add_i32 s1, s1, -1
	s_delay_alu instid0(SALU_CYCLE_1)
	s_cmp_eq_u32 s1, 0
	s_cbranch_scc1 .LBB35_6
.LBB35_2:                               ; =>This Inner Loop Header: Depth=1
	s_waitcnt vmcnt(0)
	v_mov_b32_dpp v8, v1 quad_perm:[1,0,3,2] row_mask:0xf bank_mask:0xf
	s_delay_alu instid0(VALU_DEP_1) | instskip(NEXT) | instid1(VALU_DEP_1)
	v_add_nc_u32_e32 v1, v8, v1
	v_mov_b32_dpp v8, v1 quad_perm:[2,3,0,1] row_mask:0xf bank_mask:0xf
	s_delay_alu instid0(VALU_DEP_1) | instskip(NEXT) | instid1(VALU_DEP_1)
	v_add_nc_u32_e32 v1, v1, v8
	v_mov_b32_dpp v8, v1 row_ror:4 row_mask:0xf bank_mask:0xf
	s_delay_alu instid0(VALU_DEP_1) | instskip(NEXT) | instid1(VALU_DEP_1)
	v_add_nc_u32_e32 v1, v1, v8
	v_mov_b32_dpp v8, v1 row_ror:8 row_mask:0xf bank_mask:0xf
	s_delay_alu instid0(VALU_DEP_1)
	v_add_nc_u32_e32 v1, v1, v8
	ds_swizzle_b32 v8, v1 offset:swizzle(BROADCAST,32,15)
	s_waitcnt lgkmcnt(0)
	v_add_nc_u32_e32 v1, v1, v8
	ds_bpermute_b32 v1, v2, v1
	s_and_saveexec_b32 s5, vcc_lo
	s_cbranch_execz .LBB35_4
; %bb.3:                                ;   in Loop: Header=BB35_2 Depth=1
	s_waitcnt lgkmcnt(0)
	ds_store_b32 v3, v1
.LBB35_4:                               ;   in Loop: Header=BB35_2 Depth=1
	s_or_b32 exec_lo, exec_lo, s5
	s_waitcnt lgkmcnt(0)
	s_barrier
	buffer_gl0_inv
	s_and_saveexec_b32 s5, s0
	s_cbranch_execz .LBB35_1
; %bb.5:                                ;   in Loop: Header=BB35_2 Depth=1
	ds_load_b32 v1, v4
	s_waitcnt lgkmcnt(0)
	ds_bpermute_b32 v8, v5, v1
	s_waitcnt lgkmcnt(0)
	v_add_nc_u32_e32 v1, v8, v1
	ds_bpermute_b32 v8, v6, v1
	s_waitcnt lgkmcnt(0)
	v_add_nc_u32_e32 v1, v8, v1
	;; [unrolled: 3-line block ×3, first 2 shown]
	s_branch .LBB35_1
.LBB35_6:
	s_set_inst_prefetch_distance 0x2
	s_mov_b32 s5, 0
	s_mov_b32 s0, exec_lo
	v_cmpx_eq_u32_e32 0, v0
	s_cbranch_execz .LBB35_8
; %bb.7:
	s_lshl_b64 s[0:1], s[4:5], 2
	v_mov_b32_e32 v0, 0
	s_add_u32 s0, s2, s0
	s_addc_u32 s1, s3, s1
	global_store_b32 v0, v1, s[0:1]
.LBB35_8:
	s_nop 0
	s_sendmsg sendmsg(MSG_DEALLOC_VGPRS)
	s_endpgm
	.section	.rodata,"a",@progbits
	.p2align	6, 0x0
	.amdhsa_kernel _Z6kernelI6reduceILN6hipcub20BlockReduceAlgorithmE0EEiLj256ELj1ELj100EEvPKT0_PS4_
		.amdhsa_group_segment_fixed_size 32
		.amdhsa_private_segment_fixed_size 0
		.amdhsa_kernarg_size 272
		.amdhsa_user_sgpr_count 15
		.amdhsa_user_sgpr_dispatch_ptr 0
		.amdhsa_user_sgpr_queue_ptr 0
		.amdhsa_user_sgpr_kernarg_segment_ptr 1
		.amdhsa_user_sgpr_dispatch_id 0
		.amdhsa_user_sgpr_private_segment_size 0
		.amdhsa_wavefront_size32 1
		.amdhsa_uses_dynamic_stack 0
		.amdhsa_enable_private_segment 0
		.amdhsa_system_sgpr_workgroup_id_x 1
		.amdhsa_system_sgpr_workgroup_id_y 0
		.amdhsa_system_sgpr_workgroup_id_z 0
		.amdhsa_system_sgpr_workgroup_info 0
		.amdhsa_system_vgpr_workitem_id 0
		.amdhsa_next_free_vgpr 11
		.amdhsa_next_free_sgpr 16
		.amdhsa_reserve_vcc 1
		.amdhsa_float_round_mode_32 0
		.amdhsa_float_round_mode_16_64 0
		.amdhsa_float_denorm_mode_32 3
		.amdhsa_float_denorm_mode_16_64 3
		.amdhsa_dx10_clamp 1
		.amdhsa_ieee_mode 1
		.amdhsa_fp16_overflow 0
		.amdhsa_workgroup_processor_mode 1
		.amdhsa_memory_ordered 1
		.amdhsa_forward_progress 0
		.amdhsa_shared_vgpr_count 0
		.amdhsa_exception_fp_ieee_invalid_op 0
		.amdhsa_exception_fp_denorm_src 0
		.amdhsa_exception_fp_ieee_div_zero 0
		.amdhsa_exception_fp_ieee_overflow 0
		.amdhsa_exception_fp_ieee_underflow 0
		.amdhsa_exception_fp_ieee_inexact 0
		.amdhsa_exception_int_div_zero 0
	.end_amdhsa_kernel
	.section	.text._Z6kernelI6reduceILN6hipcub20BlockReduceAlgorithmE0EEiLj256ELj1ELj100EEvPKT0_PS4_,"axG",@progbits,_Z6kernelI6reduceILN6hipcub20BlockReduceAlgorithmE0EEiLj256ELj1ELj100EEvPKT0_PS4_,comdat
.Lfunc_end35:
	.size	_Z6kernelI6reduceILN6hipcub20BlockReduceAlgorithmE0EEiLj256ELj1ELj100EEvPKT0_PS4_, .Lfunc_end35-_Z6kernelI6reduceILN6hipcub20BlockReduceAlgorithmE0EEiLj256ELj1ELj100EEvPKT0_PS4_
                                        ; -- End function
	.section	.AMDGPU.csdata,"",@progbits
; Kernel info:
; codeLenInByte = 512
; NumSgprs: 18
; NumVgprs: 11
; ScratchSize: 0
; MemoryBound: 0
; FloatMode: 240
; IeeeMode: 1
; LDSByteSize: 32 bytes/workgroup (compile time only)
; SGPRBlocks: 2
; VGPRBlocks: 1
; NumSGPRsForWavesPerEU: 18
; NumVGPRsForWavesPerEU: 11
; Occupancy: 16
; WaveLimiterHint : 0
; COMPUTE_PGM_RSRC2:SCRATCH_EN: 0
; COMPUTE_PGM_RSRC2:USER_SGPR: 15
; COMPUTE_PGM_RSRC2:TRAP_HANDLER: 0
; COMPUTE_PGM_RSRC2:TGID_X_EN: 1
; COMPUTE_PGM_RSRC2:TGID_Y_EN: 0
; COMPUTE_PGM_RSRC2:TGID_Z_EN: 0
; COMPUTE_PGM_RSRC2:TIDIG_COMP_CNT: 0
	.section	.text._Z6kernelI6reduceILN6hipcub20BlockReduceAlgorithmE0EEiLj256ELj2ELj100EEvPKT0_PS4_,"axG",@progbits,_Z6kernelI6reduceILN6hipcub20BlockReduceAlgorithmE0EEiLj256ELj2ELj100EEvPKT0_PS4_,comdat
	.protected	_Z6kernelI6reduceILN6hipcub20BlockReduceAlgorithmE0EEiLj256ELj2ELj100EEvPKT0_PS4_ ; -- Begin function _Z6kernelI6reduceILN6hipcub20BlockReduceAlgorithmE0EEiLj256ELj2ELj100EEvPKT0_PS4_
	.globl	_Z6kernelI6reduceILN6hipcub20BlockReduceAlgorithmE0EEiLj256ELj2ELj100EEvPKT0_PS4_
	.p2align	8
	.type	_Z6kernelI6reduceILN6hipcub20BlockReduceAlgorithmE0EEiLj256ELj2ELj100EEvPKT0_PS4_,@function
_Z6kernelI6reduceILN6hipcub20BlockReduceAlgorithmE0EEiLj256ELj2ELj100EEvPKT0_PS4_: ; @_Z6kernelI6reduceILN6hipcub20BlockReduceAlgorithmE0EEiLj256ELj2ELj100EEvPKT0_PS4_
; %bb.0:
	s_clause 0x1
	s_load_b32 s5, s[0:1], 0x1c
	s_load_b128 s[0:3], s[0:1], 0x0
	v_mbcnt_lo_u32_b32 v8, -1, 0
	v_mov_b32_e32 v2, 0
	v_lshrrev_b32_e32 v4, 3, v0
	s_mov_b32 s4, s15
	s_delay_alu instid0(VALU_DEP_3) | instskip(NEXT) | instid1(VALU_DEP_2)
	v_and_b32_e32 v5, 7, v8
	v_and_b32_e32 v4, 28, v4
	s_waitcnt lgkmcnt(0)
	s_and_b32 s5, s5, 0xffff
	s_delay_alu instid0(SALU_CYCLE_1) | instskip(NEXT) | instid1(SALU_CYCLE_1)
	s_mul_i32 s5, s15, s5
	v_add_lshl_u32 v1, s5, v0, 1
	s_delay_alu instid0(VALU_DEP_1) | instskip(NEXT) | instid1(VALU_DEP_1)
	v_lshlrev_b64 v[1:2], 2, v[1:2]
	v_add_co_u32 v1, vcc_lo, s0, v1
	s_delay_alu instid0(VALU_DEP_2)
	v_add_co_ci_u32_e32 v2, vcc_lo, s1, v2, vcc_lo
	v_cmp_gt_u32_e64 s1, 6, v5
	v_cmp_eq_u32_e32 vcc_lo, 0, v8
	v_cmp_gt_u32_e64 s0, 32, v0
	global_load_b64 v[1:2], v[1:2], off
	v_cndmask_b32_e64 v6, 0, 1, s1
	v_cmp_gt_u32_e64 s1, 4, v5
	s_delay_alu instid0(VALU_DEP_2) | instskip(NEXT) | instid1(VALU_DEP_2)
	v_dual_mov_b32 v3, 0x7c :: v_dual_lshlrev_b32 v10, 1, v6
	v_cndmask_b32_e64 v7, 0, 1, s1
	v_cmp_ne_u32_e64 s1, 7, v5
	v_lshlrev_b32_e32 v5, 2, v5
	s_delay_alu instid0(VALU_DEP_3) | instskip(NEXT) | instid1(VALU_DEP_3)
	v_lshlrev_b32_e32 v11, 2, v7
	v_add_co_ci_u32_e64 v9, s1, 0, v8, s1
	v_add_lshl_u32 v7, v10, v8, 2
	s_movk_i32 s1, 0x64
	s_delay_alu instid0(VALU_DEP_3) | instskip(NEXT) | instid1(VALU_DEP_3)
	v_add_lshl_u32 v8, v11, v8, 2
	v_lshlrev_b32_e32 v6, 2, v9
	s_set_inst_prefetch_distance 0x1
	s_branch .LBB36_2
	.p2align	6
.LBB36_1:                               ;   in Loop: Header=BB36_2 Depth=1
	s_or_b32 exec_lo, exec_lo, s5
	s_add_i32 s1, s1, -1
	s_delay_alu instid0(SALU_CYCLE_1)
	s_cmp_eq_u32 s1, 0
	s_cbranch_scc1 .LBB36_6
.LBB36_2:                               ; =>This Inner Loop Header: Depth=1
	s_waitcnt vmcnt(0)
	v_add_nc_u32_e32 v1, v2, v1
	s_delay_alu instid0(VALU_DEP_1) | instskip(NEXT) | instid1(VALU_DEP_1)
	v_mov_b32_dpp v9, v1 quad_perm:[1,0,3,2] row_mask:0xf bank_mask:0xf
	v_add_nc_u32_e32 v1, v1, v9
	s_delay_alu instid0(VALU_DEP_1) | instskip(NEXT) | instid1(VALU_DEP_1)
	v_mov_b32_dpp v9, v1 quad_perm:[2,3,0,1] row_mask:0xf bank_mask:0xf
	v_add_nc_u32_e32 v1, v1, v9
	s_delay_alu instid0(VALU_DEP_1) | instskip(NEXT) | instid1(VALU_DEP_1)
	v_mov_b32_dpp v9, v1 row_ror:4 row_mask:0xf bank_mask:0xf
	v_add_nc_u32_e32 v1, v1, v9
	s_delay_alu instid0(VALU_DEP_1) | instskip(NEXT) | instid1(VALU_DEP_1)
	v_mov_b32_dpp v9, v1 row_ror:8 row_mask:0xf bank_mask:0xf
	v_add_nc_u32_e32 v1, v1, v9
	ds_swizzle_b32 v9, v1 offset:swizzle(BROADCAST,32,15)
	s_waitcnt lgkmcnt(0)
	v_add_nc_u32_e32 v1, v1, v9
	ds_bpermute_b32 v1, v3, v1
	s_and_saveexec_b32 s5, vcc_lo
	s_cbranch_execz .LBB36_4
; %bb.3:                                ;   in Loop: Header=BB36_2 Depth=1
	s_waitcnt lgkmcnt(0)
	ds_store_b32 v4, v1
.LBB36_4:                               ;   in Loop: Header=BB36_2 Depth=1
	s_or_b32 exec_lo, exec_lo, s5
	s_waitcnt lgkmcnt(0)
	s_barrier
	buffer_gl0_inv
	s_and_saveexec_b32 s5, s0
	s_cbranch_execz .LBB36_1
; %bb.5:                                ;   in Loop: Header=BB36_2 Depth=1
	ds_load_b32 v1, v5
	s_waitcnt lgkmcnt(0)
	ds_bpermute_b32 v9, v6, v1
	s_waitcnt lgkmcnt(0)
	v_add_nc_u32_e32 v1, v9, v1
	ds_bpermute_b32 v9, v7, v1
	s_waitcnt lgkmcnt(0)
	v_add_nc_u32_e32 v1, v9, v1
	;; [unrolled: 3-line block ×3, first 2 shown]
	s_branch .LBB36_1
.LBB36_6:
	s_set_inst_prefetch_distance 0x2
	s_mov_b32 s5, 0
	s_mov_b32 s0, exec_lo
	v_cmpx_eq_u32_e32 0, v0
	s_cbranch_execz .LBB36_8
; %bb.7:
	s_lshl_b64 s[0:1], s[4:5], 2
	v_mov_b32_e32 v0, 0
	s_add_u32 s0, s2, s0
	s_addc_u32 s1, s3, s1
	global_store_b32 v0, v1, s[0:1]
.LBB36_8:
	s_nop 0
	s_sendmsg sendmsg(MSG_DEALLOC_VGPRS)
	s_endpgm
	.section	.rodata,"a",@progbits
	.p2align	6, 0x0
	.amdhsa_kernel _Z6kernelI6reduceILN6hipcub20BlockReduceAlgorithmE0EEiLj256ELj2ELj100EEvPKT0_PS4_
		.amdhsa_group_segment_fixed_size 32
		.amdhsa_private_segment_fixed_size 0
		.amdhsa_kernarg_size 272
		.amdhsa_user_sgpr_count 15
		.amdhsa_user_sgpr_dispatch_ptr 0
		.amdhsa_user_sgpr_queue_ptr 0
		.amdhsa_user_sgpr_kernarg_segment_ptr 1
		.amdhsa_user_sgpr_dispatch_id 0
		.amdhsa_user_sgpr_private_segment_size 0
		.amdhsa_wavefront_size32 1
		.amdhsa_uses_dynamic_stack 0
		.amdhsa_enable_private_segment 0
		.amdhsa_system_sgpr_workgroup_id_x 1
		.amdhsa_system_sgpr_workgroup_id_y 0
		.amdhsa_system_sgpr_workgroup_id_z 0
		.amdhsa_system_sgpr_workgroup_info 0
		.amdhsa_system_vgpr_workitem_id 0
		.amdhsa_next_free_vgpr 12
		.amdhsa_next_free_sgpr 16
		.amdhsa_reserve_vcc 1
		.amdhsa_float_round_mode_32 0
		.amdhsa_float_round_mode_16_64 0
		.amdhsa_float_denorm_mode_32 3
		.amdhsa_float_denorm_mode_16_64 3
		.amdhsa_dx10_clamp 1
		.amdhsa_ieee_mode 1
		.amdhsa_fp16_overflow 0
		.amdhsa_workgroup_processor_mode 1
		.amdhsa_memory_ordered 1
		.amdhsa_forward_progress 0
		.amdhsa_shared_vgpr_count 0
		.amdhsa_exception_fp_ieee_invalid_op 0
		.amdhsa_exception_fp_denorm_src 0
		.amdhsa_exception_fp_ieee_div_zero 0
		.amdhsa_exception_fp_ieee_overflow 0
		.amdhsa_exception_fp_ieee_underflow 0
		.amdhsa_exception_fp_ieee_inexact 0
		.amdhsa_exception_int_div_zero 0
	.end_amdhsa_kernel
	.section	.text._Z6kernelI6reduceILN6hipcub20BlockReduceAlgorithmE0EEiLj256ELj2ELj100EEvPKT0_PS4_,"axG",@progbits,_Z6kernelI6reduceILN6hipcub20BlockReduceAlgorithmE0EEiLj256ELj2ELj100EEvPKT0_PS4_,comdat
.Lfunc_end36:
	.size	_Z6kernelI6reduceILN6hipcub20BlockReduceAlgorithmE0EEiLj256ELj2ELj100EEvPKT0_PS4_, .Lfunc_end36-_Z6kernelI6reduceILN6hipcub20BlockReduceAlgorithmE0EEiLj256ELj2ELj100EEvPKT0_PS4_
                                        ; -- End function
	.section	.AMDGPU.csdata,"",@progbits
; Kernel info:
; codeLenInByte = 524
; NumSgprs: 18
; NumVgprs: 12
; ScratchSize: 0
; MemoryBound: 0
; FloatMode: 240
; IeeeMode: 1
; LDSByteSize: 32 bytes/workgroup (compile time only)
; SGPRBlocks: 2
; VGPRBlocks: 1
; NumSGPRsForWavesPerEU: 18
; NumVGPRsForWavesPerEU: 12
; Occupancy: 16
; WaveLimiterHint : 0
; COMPUTE_PGM_RSRC2:SCRATCH_EN: 0
; COMPUTE_PGM_RSRC2:USER_SGPR: 15
; COMPUTE_PGM_RSRC2:TRAP_HANDLER: 0
; COMPUTE_PGM_RSRC2:TGID_X_EN: 1
; COMPUTE_PGM_RSRC2:TGID_Y_EN: 0
; COMPUTE_PGM_RSRC2:TGID_Z_EN: 0
; COMPUTE_PGM_RSRC2:TIDIG_COMP_CNT: 0
	.section	.text._Z6kernelI6reduceILN6hipcub20BlockReduceAlgorithmE0EEiLj256ELj3ELj100EEvPKT0_PS4_,"axG",@progbits,_Z6kernelI6reduceILN6hipcub20BlockReduceAlgorithmE0EEiLj256ELj3ELj100EEvPKT0_PS4_,comdat
	.protected	_Z6kernelI6reduceILN6hipcub20BlockReduceAlgorithmE0EEiLj256ELj3ELj100EEvPKT0_PS4_ ; -- Begin function _Z6kernelI6reduceILN6hipcub20BlockReduceAlgorithmE0EEiLj256ELj3ELj100EEvPKT0_PS4_
	.globl	_Z6kernelI6reduceILN6hipcub20BlockReduceAlgorithmE0EEiLj256ELj3ELj100EEvPKT0_PS4_
	.p2align	8
	.type	_Z6kernelI6reduceILN6hipcub20BlockReduceAlgorithmE0EEiLj256ELj3ELj100EEvPKT0_PS4_,@function
_Z6kernelI6reduceILN6hipcub20BlockReduceAlgorithmE0EEiLj256ELj3ELj100EEvPKT0_PS4_: ; @_Z6kernelI6reduceILN6hipcub20BlockReduceAlgorithmE0EEiLj256ELj3ELj100EEvPKT0_PS4_
; %bb.0:
	s_load_b32 s2, s[0:1], 0x1c
	s_mov_b32 s4, s15
	v_mbcnt_lo_u32_b32 v9, -1, 0
	s_waitcnt lgkmcnt(0)
	s_and_b32 s2, s2, 0xffff
	s_delay_alu instid0(SALU_CYCLE_1) | instskip(SKIP_1) | instid1(VALU_DEP_1)
	v_mad_u64_u32 v[1:2], null, s4, s2, v[0:1]
	s_load_b128 s[0:3], s[0:1], 0x0
	v_lshl_add_u32 v1, v1, 1, v1
	s_delay_alu instid0(VALU_DEP_1) | instskip(NEXT) | instid1(VALU_DEP_1)
	v_dual_mov_b32 v2, 0 :: v_dual_add_nc_u32 v3, 1, v1
	v_mov_b32_e32 v4, v2
	v_lshlrev_b64 v[5:6], 2, v[1:2]
	v_add_nc_u32_e32 v1, 2, v1
	s_delay_alu instid0(VALU_DEP_3) | instskip(NEXT) | instid1(VALU_DEP_2)
	v_lshlrev_b64 v[3:4], 2, v[3:4]
	v_lshlrev_b64 v[1:2], 2, v[1:2]
	s_waitcnt lgkmcnt(0)
	s_delay_alu instid0(VALU_DEP_4) | instskip(SKIP_1) | instid1(VALU_DEP_4)
	v_add_co_u32 v5, vcc_lo, s0, v5
	v_add_co_ci_u32_e32 v6, vcc_lo, s1, v6, vcc_lo
	v_add_co_u32 v3, vcc_lo, s0, v3
	v_add_co_ci_u32_e32 v4, vcc_lo, s1, v4, vcc_lo
	;; [unrolled: 2-line block ×3, first 2 shown]
	s_clause 0x2
	global_load_b32 v1, v[5:6], off
	global_load_b32 v2, v[3:4], off
	global_load_b32 v3, v[7:8], off
	v_and_b32_e32 v6, 7, v9
	v_lshrrev_b32_e32 v5, 3, v0
	v_cmp_eq_u32_e32 vcc_lo, 0, v9
	v_cmp_gt_u32_e64 s0, 32, v0
	s_delay_alu instid0(VALU_DEP_4) | instskip(NEXT) | instid1(VALU_DEP_4)
	v_cmp_gt_u32_e64 s1, 6, v6
	v_and_b32_e32 v5, 28, v5
	s_delay_alu instid0(VALU_DEP_2) | instskip(SKIP_1) | instid1(VALU_DEP_2)
	v_cndmask_b32_e64 v7, 0, 1, s1
	v_cmp_gt_u32_e64 s1, 4, v6
	v_dual_mov_b32 v4, 0x7c :: v_dual_lshlrev_b32 v11, 1, v7
	s_delay_alu instid0(VALU_DEP_2) | instskip(SKIP_2) | instid1(VALU_DEP_3)
	v_cndmask_b32_e64 v8, 0, 1, s1
	v_cmp_ne_u32_e64 s1, 7, v6
	v_lshlrev_b32_e32 v6, 2, v6
	v_lshlrev_b32_e32 v12, 2, v8
	s_delay_alu instid0(VALU_DEP_3) | instskip(SKIP_2) | instid1(VALU_DEP_3)
	v_add_co_ci_u32_e64 v10, s1, 0, v9, s1
	v_add_lshl_u32 v8, v11, v9, 2
	s_movk_i32 s1, 0x64
	v_add_lshl_u32 v9, v12, v9, 2
	s_delay_alu instid0(VALU_DEP_3)
	v_lshlrev_b32_e32 v7, 2, v10
	s_set_inst_prefetch_distance 0x1
	s_branch .LBB37_2
	.p2align	6
.LBB37_1:                               ;   in Loop: Header=BB37_2 Depth=1
	s_or_b32 exec_lo, exec_lo, s5
	s_add_i32 s1, s1, -1
	s_delay_alu instid0(SALU_CYCLE_1)
	s_cmp_eq_u32 s1, 0
	s_cbranch_scc1 .LBB37_6
.LBB37_2:                               ; =>This Inner Loop Header: Depth=1
	s_waitcnt vmcnt(0)
	v_add3_u32 v1, v2, v1, v3
	s_delay_alu instid0(VALU_DEP_1) | instskip(NEXT) | instid1(VALU_DEP_1)
	v_mov_b32_dpp v10, v1 quad_perm:[1,0,3,2] row_mask:0xf bank_mask:0xf
	v_add_nc_u32_e32 v1, v1, v10
	s_delay_alu instid0(VALU_DEP_1) | instskip(NEXT) | instid1(VALU_DEP_1)
	v_mov_b32_dpp v10, v1 quad_perm:[2,3,0,1] row_mask:0xf bank_mask:0xf
	v_add_nc_u32_e32 v1, v1, v10
	s_delay_alu instid0(VALU_DEP_1) | instskip(NEXT) | instid1(VALU_DEP_1)
	v_mov_b32_dpp v10, v1 row_ror:4 row_mask:0xf bank_mask:0xf
	v_add_nc_u32_e32 v1, v1, v10
	s_delay_alu instid0(VALU_DEP_1) | instskip(NEXT) | instid1(VALU_DEP_1)
	v_mov_b32_dpp v10, v1 row_ror:8 row_mask:0xf bank_mask:0xf
	v_add_nc_u32_e32 v1, v1, v10
	ds_swizzle_b32 v10, v1 offset:swizzle(BROADCAST,32,15)
	s_waitcnt lgkmcnt(0)
	v_add_nc_u32_e32 v1, v1, v10
	ds_bpermute_b32 v1, v4, v1
	s_and_saveexec_b32 s5, vcc_lo
	s_cbranch_execz .LBB37_4
; %bb.3:                                ;   in Loop: Header=BB37_2 Depth=1
	s_waitcnt lgkmcnt(0)
	ds_store_b32 v5, v1
.LBB37_4:                               ;   in Loop: Header=BB37_2 Depth=1
	s_or_b32 exec_lo, exec_lo, s5
	s_waitcnt lgkmcnt(0)
	s_barrier
	buffer_gl0_inv
	s_and_saveexec_b32 s5, s0
	s_cbranch_execz .LBB37_1
; %bb.5:                                ;   in Loop: Header=BB37_2 Depth=1
	ds_load_b32 v1, v6
	s_waitcnt lgkmcnt(0)
	ds_bpermute_b32 v10, v7, v1
	s_waitcnt lgkmcnt(0)
	v_add_nc_u32_e32 v1, v10, v1
	ds_bpermute_b32 v10, v8, v1
	s_waitcnt lgkmcnt(0)
	v_add_nc_u32_e32 v1, v10, v1
	;; [unrolled: 3-line block ×3, first 2 shown]
	s_branch .LBB37_1
.LBB37_6:
	s_set_inst_prefetch_distance 0x2
	s_mov_b32 s5, 0
	s_mov_b32 s0, exec_lo
	v_cmpx_eq_u32_e32 0, v0
	s_cbranch_execz .LBB37_8
; %bb.7:
	s_lshl_b64 s[0:1], s[4:5], 2
	v_mov_b32_e32 v0, 0
	s_add_u32 s0, s2, s0
	s_addc_u32 s1, s3, s1
	global_store_b32 v0, v1, s[0:1]
.LBB37_8:
	s_nop 0
	s_sendmsg sendmsg(MSG_DEALLOC_VGPRS)
	s_endpgm
	.section	.rodata,"a",@progbits
	.p2align	6, 0x0
	.amdhsa_kernel _Z6kernelI6reduceILN6hipcub20BlockReduceAlgorithmE0EEiLj256ELj3ELj100EEvPKT0_PS4_
		.amdhsa_group_segment_fixed_size 32
		.amdhsa_private_segment_fixed_size 0
		.amdhsa_kernarg_size 272
		.amdhsa_user_sgpr_count 15
		.amdhsa_user_sgpr_dispatch_ptr 0
		.amdhsa_user_sgpr_queue_ptr 0
		.amdhsa_user_sgpr_kernarg_segment_ptr 1
		.amdhsa_user_sgpr_dispatch_id 0
		.amdhsa_user_sgpr_private_segment_size 0
		.amdhsa_wavefront_size32 1
		.amdhsa_uses_dynamic_stack 0
		.amdhsa_enable_private_segment 0
		.amdhsa_system_sgpr_workgroup_id_x 1
		.amdhsa_system_sgpr_workgroup_id_y 0
		.amdhsa_system_sgpr_workgroup_id_z 0
		.amdhsa_system_sgpr_workgroup_info 0
		.amdhsa_system_vgpr_workitem_id 0
		.amdhsa_next_free_vgpr 13
		.amdhsa_next_free_sgpr 16
		.amdhsa_reserve_vcc 1
		.amdhsa_float_round_mode_32 0
		.amdhsa_float_round_mode_16_64 0
		.amdhsa_float_denorm_mode_32 3
		.amdhsa_float_denorm_mode_16_64 3
		.amdhsa_dx10_clamp 1
		.amdhsa_ieee_mode 1
		.amdhsa_fp16_overflow 0
		.amdhsa_workgroup_processor_mode 1
		.amdhsa_memory_ordered 1
		.amdhsa_forward_progress 0
		.amdhsa_shared_vgpr_count 0
		.amdhsa_exception_fp_ieee_invalid_op 0
		.amdhsa_exception_fp_denorm_src 0
		.amdhsa_exception_fp_ieee_div_zero 0
		.amdhsa_exception_fp_ieee_overflow 0
		.amdhsa_exception_fp_ieee_underflow 0
		.amdhsa_exception_fp_ieee_inexact 0
		.amdhsa_exception_int_div_zero 0
	.end_amdhsa_kernel
	.section	.text._Z6kernelI6reduceILN6hipcub20BlockReduceAlgorithmE0EEiLj256ELj3ELj100EEvPKT0_PS4_,"axG",@progbits,_Z6kernelI6reduceILN6hipcub20BlockReduceAlgorithmE0EEiLj256ELj3ELj100EEvPKT0_PS4_,comdat
.Lfunc_end37:
	.size	_Z6kernelI6reduceILN6hipcub20BlockReduceAlgorithmE0EEiLj256ELj3ELj100EEvPKT0_PS4_, .Lfunc_end37-_Z6kernelI6reduceILN6hipcub20BlockReduceAlgorithmE0EEiLj256ELj3ELj100EEvPKT0_PS4_
                                        ; -- End function
	.section	.AMDGPU.csdata,"",@progbits
; Kernel info:
; codeLenInByte = 612
; NumSgprs: 18
; NumVgprs: 13
; ScratchSize: 0
; MemoryBound: 0
; FloatMode: 240
; IeeeMode: 1
; LDSByteSize: 32 bytes/workgroup (compile time only)
; SGPRBlocks: 2
; VGPRBlocks: 1
; NumSGPRsForWavesPerEU: 18
; NumVGPRsForWavesPerEU: 13
; Occupancy: 16
; WaveLimiterHint : 0
; COMPUTE_PGM_RSRC2:SCRATCH_EN: 0
; COMPUTE_PGM_RSRC2:USER_SGPR: 15
; COMPUTE_PGM_RSRC2:TRAP_HANDLER: 0
; COMPUTE_PGM_RSRC2:TGID_X_EN: 1
; COMPUTE_PGM_RSRC2:TGID_Y_EN: 0
; COMPUTE_PGM_RSRC2:TGID_Z_EN: 0
; COMPUTE_PGM_RSRC2:TIDIG_COMP_CNT: 0
	.section	.text._Z6kernelI6reduceILN6hipcub20BlockReduceAlgorithmE0EEiLj256ELj4ELj100EEvPKT0_PS4_,"axG",@progbits,_Z6kernelI6reduceILN6hipcub20BlockReduceAlgorithmE0EEiLj256ELj4ELj100EEvPKT0_PS4_,comdat
	.protected	_Z6kernelI6reduceILN6hipcub20BlockReduceAlgorithmE0EEiLj256ELj4ELj100EEvPKT0_PS4_ ; -- Begin function _Z6kernelI6reduceILN6hipcub20BlockReduceAlgorithmE0EEiLj256ELj4ELj100EEvPKT0_PS4_
	.globl	_Z6kernelI6reduceILN6hipcub20BlockReduceAlgorithmE0EEiLj256ELj4ELj100EEvPKT0_PS4_
	.p2align	8
	.type	_Z6kernelI6reduceILN6hipcub20BlockReduceAlgorithmE0EEiLj256ELj4ELj100EEvPKT0_PS4_,@function
_Z6kernelI6reduceILN6hipcub20BlockReduceAlgorithmE0EEiLj256ELj4ELj100EEvPKT0_PS4_: ; @_Z6kernelI6reduceILN6hipcub20BlockReduceAlgorithmE0EEiLj256ELj4ELj100EEvPKT0_PS4_
; %bb.0:
	s_clause 0x1
	s_load_b32 s5, s[0:1], 0x1c
	s_load_b128 s[0:3], s[0:1], 0x0
	v_mbcnt_lo_u32_b32 v10, -1, 0
	v_mov_b32_e32 v2, 0
	v_lshrrev_b32_e32 v6, 3, v0
	s_mov_b32 s4, s15
	s_delay_alu instid0(VALU_DEP_3) | instskip(NEXT) | instid1(VALU_DEP_2)
	v_and_b32_e32 v7, 7, v10
	v_and_b32_e32 v6, 28, v6
	s_waitcnt lgkmcnt(0)
	s_and_b32 s5, s5, 0xffff
	s_delay_alu instid0(SALU_CYCLE_1) | instskip(NEXT) | instid1(SALU_CYCLE_1)
	s_mul_i32 s5, s15, s5
	v_add_lshl_u32 v1, s5, v0, 2
	s_delay_alu instid0(VALU_DEP_1) | instskip(NEXT) | instid1(VALU_DEP_1)
	v_lshlrev_b64 v[1:2], 2, v[1:2]
	v_add_co_u32 v1, vcc_lo, s0, v1
	s_delay_alu instid0(VALU_DEP_2)
	v_add_co_ci_u32_e32 v2, vcc_lo, s1, v2, vcc_lo
	v_cmp_gt_u32_e64 s1, 6, v7
	v_cmp_eq_u32_e32 vcc_lo, 0, v10
	v_cmp_gt_u32_e64 s0, 32, v0
	global_load_b128 v[1:4], v[1:2], off
	v_cndmask_b32_e64 v8, 0, 1, s1
	v_cmp_gt_u32_e64 s1, 4, v7
	s_delay_alu instid0(VALU_DEP_2) | instskip(NEXT) | instid1(VALU_DEP_2)
	v_dual_mov_b32 v5, 0x7c :: v_dual_lshlrev_b32 v12, 1, v8
	v_cndmask_b32_e64 v9, 0, 1, s1
	v_cmp_ne_u32_e64 s1, 7, v7
	v_lshlrev_b32_e32 v7, 2, v7
	s_delay_alu instid0(VALU_DEP_3) | instskip(NEXT) | instid1(VALU_DEP_3)
	v_lshlrev_b32_e32 v13, 2, v9
	v_add_co_ci_u32_e64 v11, s1, 0, v10, s1
	v_add_lshl_u32 v9, v12, v10, 2
	s_movk_i32 s1, 0x64
	s_delay_alu instid0(VALU_DEP_3) | instskip(NEXT) | instid1(VALU_DEP_3)
	v_add_lshl_u32 v10, v13, v10, 2
	v_lshlrev_b32_e32 v8, 2, v11
	s_set_inst_prefetch_distance 0x1
	s_branch .LBB38_2
	.p2align	6
.LBB38_1:                               ;   in Loop: Header=BB38_2 Depth=1
	s_or_b32 exec_lo, exec_lo, s5
	s_add_i32 s1, s1, -1
	s_delay_alu instid0(SALU_CYCLE_1)
	s_cmp_eq_u32 s1, 0
	s_cbranch_scc1 .LBB38_6
.LBB38_2:                               ; =>This Inner Loop Header: Depth=1
	s_waitcnt vmcnt(0)
	v_add_nc_u32_e32 v1, v2, v1
	s_delay_alu instid0(VALU_DEP_1) | instskip(NEXT) | instid1(VALU_DEP_1)
	v_add3_u32 v1, v1, v3, v4
	v_mov_b32_dpp v11, v1 quad_perm:[1,0,3,2] row_mask:0xf bank_mask:0xf
	s_delay_alu instid0(VALU_DEP_1) | instskip(NEXT) | instid1(VALU_DEP_1)
	v_add_nc_u32_e32 v1, v1, v11
	v_mov_b32_dpp v11, v1 quad_perm:[2,3,0,1] row_mask:0xf bank_mask:0xf
	s_delay_alu instid0(VALU_DEP_1) | instskip(NEXT) | instid1(VALU_DEP_1)
	v_add_nc_u32_e32 v1, v1, v11
	v_mov_b32_dpp v11, v1 row_ror:4 row_mask:0xf bank_mask:0xf
	s_delay_alu instid0(VALU_DEP_1) | instskip(NEXT) | instid1(VALU_DEP_1)
	v_add_nc_u32_e32 v1, v1, v11
	v_mov_b32_dpp v11, v1 row_ror:8 row_mask:0xf bank_mask:0xf
	s_delay_alu instid0(VALU_DEP_1)
	v_add_nc_u32_e32 v1, v1, v11
	ds_swizzle_b32 v11, v1 offset:swizzle(BROADCAST,32,15)
	s_waitcnt lgkmcnt(0)
	v_add_nc_u32_e32 v1, v1, v11
	ds_bpermute_b32 v1, v5, v1
	s_and_saveexec_b32 s5, vcc_lo
	s_cbranch_execz .LBB38_4
; %bb.3:                                ;   in Loop: Header=BB38_2 Depth=1
	s_waitcnt lgkmcnt(0)
	ds_store_b32 v6, v1
.LBB38_4:                               ;   in Loop: Header=BB38_2 Depth=1
	s_or_b32 exec_lo, exec_lo, s5
	s_waitcnt lgkmcnt(0)
	s_barrier
	buffer_gl0_inv
	s_and_saveexec_b32 s5, s0
	s_cbranch_execz .LBB38_1
; %bb.5:                                ;   in Loop: Header=BB38_2 Depth=1
	ds_load_b32 v1, v7
	s_waitcnt lgkmcnt(0)
	ds_bpermute_b32 v11, v8, v1
	s_waitcnt lgkmcnt(0)
	v_add_nc_u32_e32 v1, v11, v1
	ds_bpermute_b32 v11, v9, v1
	s_waitcnt lgkmcnt(0)
	v_add_nc_u32_e32 v1, v11, v1
	;; [unrolled: 3-line block ×3, first 2 shown]
	s_branch .LBB38_1
.LBB38_6:
	s_set_inst_prefetch_distance 0x2
	s_mov_b32 s5, 0
	s_mov_b32 s0, exec_lo
	v_cmpx_eq_u32_e32 0, v0
	s_cbranch_execz .LBB38_8
; %bb.7:
	s_lshl_b64 s[0:1], s[4:5], 2
	v_mov_b32_e32 v0, 0
	s_add_u32 s0, s2, s0
	s_addc_u32 s1, s3, s1
	global_store_b32 v0, v1, s[0:1]
.LBB38_8:
	s_nop 0
	s_sendmsg sendmsg(MSG_DEALLOC_VGPRS)
	s_endpgm
	.section	.rodata,"a",@progbits
	.p2align	6, 0x0
	.amdhsa_kernel _Z6kernelI6reduceILN6hipcub20BlockReduceAlgorithmE0EEiLj256ELj4ELj100EEvPKT0_PS4_
		.amdhsa_group_segment_fixed_size 32
		.amdhsa_private_segment_fixed_size 0
		.amdhsa_kernarg_size 272
		.amdhsa_user_sgpr_count 15
		.amdhsa_user_sgpr_dispatch_ptr 0
		.amdhsa_user_sgpr_queue_ptr 0
		.amdhsa_user_sgpr_kernarg_segment_ptr 1
		.amdhsa_user_sgpr_dispatch_id 0
		.amdhsa_user_sgpr_private_segment_size 0
		.amdhsa_wavefront_size32 1
		.amdhsa_uses_dynamic_stack 0
		.amdhsa_enable_private_segment 0
		.amdhsa_system_sgpr_workgroup_id_x 1
		.amdhsa_system_sgpr_workgroup_id_y 0
		.amdhsa_system_sgpr_workgroup_id_z 0
		.amdhsa_system_sgpr_workgroup_info 0
		.amdhsa_system_vgpr_workitem_id 0
		.amdhsa_next_free_vgpr 14
		.amdhsa_next_free_sgpr 16
		.amdhsa_reserve_vcc 1
		.amdhsa_float_round_mode_32 0
		.amdhsa_float_round_mode_16_64 0
		.amdhsa_float_denorm_mode_32 3
		.amdhsa_float_denorm_mode_16_64 3
		.amdhsa_dx10_clamp 1
		.amdhsa_ieee_mode 1
		.amdhsa_fp16_overflow 0
		.amdhsa_workgroup_processor_mode 1
		.amdhsa_memory_ordered 1
		.amdhsa_forward_progress 0
		.amdhsa_shared_vgpr_count 0
		.amdhsa_exception_fp_ieee_invalid_op 0
		.amdhsa_exception_fp_denorm_src 0
		.amdhsa_exception_fp_ieee_div_zero 0
		.amdhsa_exception_fp_ieee_overflow 0
		.amdhsa_exception_fp_ieee_underflow 0
		.amdhsa_exception_fp_ieee_inexact 0
		.amdhsa_exception_int_div_zero 0
	.end_amdhsa_kernel
	.section	.text._Z6kernelI6reduceILN6hipcub20BlockReduceAlgorithmE0EEiLj256ELj4ELj100EEvPKT0_PS4_,"axG",@progbits,_Z6kernelI6reduceILN6hipcub20BlockReduceAlgorithmE0EEiLj256ELj4ELj100EEvPKT0_PS4_,comdat
.Lfunc_end38:
	.size	_Z6kernelI6reduceILN6hipcub20BlockReduceAlgorithmE0EEiLj256ELj4ELj100EEvPKT0_PS4_, .Lfunc_end38-_Z6kernelI6reduceILN6hipcub20BlockReduceAlgorithmE0EEiLj256ELj4ELj100EEvPKT0_PS4_
                                        ; -- End function
	.section	.AMDGPU.csdata,"",@progbits
; Kernel info:
; codeLenInByte = 536
; NumSgprs: 18
; NumVgprs: 14
; ScratchSize: 0
; MemoryBound: 0
; FloatMode: 240
; IeeeMode: 1
; LDSByteSize: 32 bytes/workgroup (compile time only)
; SGPRBlocks: 2
; VGPRBlocks: 1
; NumSGPRsForWavesPerEU: 18
; NumVGPRsForWavesPerEU: 14
; Occupancy: 16
; WaveLimiterHint : 0
; COMPUTE_PGM_RSRC2:SCRATCH_EN: 0
; COMPUTE_PGM_RSRC2:USER_SGPR: 15
; COMPUTE_PGM_RSRC2:TRAP_HANDLER: 0
; COMPUTE_PGM_RSRC2:TGID_X_EN: 1
; COMPUTE_PGM_RSRC2:TGID_Y_EN: 0
; COMPUTE_PGM_RSRC2:TGID_Z_EN: 0
; COMPUTE_PGM_RSRC2:TIDIG_COMP_CNT: 0
	.section	.text._Z6kernelI6reduceILN6hipcub20BlockReduceAlgorithmE0EEiLj256ELj8ELj100EEvPKT0_PS4_,"axG",@progbits,_Z6kernelI6reduceILN6hipcub20BlockReduceAlgorithmE0EEiLj256ELj8ELj100EEvPKT0_PS4_,comdat
	.protected	_Z6kernelI6reduceILN6hipcub20BlockReduceAlgorithmE0EEiLj256ELj8ELj100EEvPKT0_PS4_ ; -- Begin function _Z6kernelI6reduceILN6hipcub20BlockReduceAlgorithmE0EEiLj256ELj8ELj100EEvPKT0_PS4_
	.globl	_Z6kernelI6reduceILN6hipcub20BlockReduceAlgorithmE0EEiLj256ELj8ELj100EEvPKT0_PS4_
	.p2align	8
	.type	_Z6kernelI6reduceILN6hipcub20BlockReduceAlgorithmE0EEiLj256ELj8ELj100EEvPKT0_PS4_,@function
_Z6kernelI6reduceILN6hipcub20BlockReduceAlgorithmE0EEiLj256ELj8ELj100EEvPKT0_PS4_: ; @_Z6kernelI6reduceILN6hipcub20BlockReduceAlgorithmE0EEiLj256ELj8ELj100EEvPKT0_PS4_
; %bb.0:
	s_clause 0x1
	s_load_b32 s5, s[0:1], 0x1c
	s_load_b128 s[0:3], s[0:1], 0x0
	v_mbcnt_lo_u32_b32 v14, -1, 0
	v_mov_b32_e32 v2, 0
	v_lshrrev_b32_e32 v10, 3, v0
	s_mov_b32 s4, s15
	s_delay_alu instid0(VALU_DEP_3) | instskip(NEXT) | instid1(VALU_DEP_2)
	v_and_b32_e32 v11, 7, v14
	v_and_b32_e32 v10, 28, v10
	s_waitcnt lgkmcnt(0)
	s_and_b32 s5, s5, 0xffff
	s_delay_alu instid0(SALU_CYCLE_1) | instskip(NEXT) | instid1(SALU_CYCLE_1)
	s_mul_i32 s5, s15, s5
	v_add_lshl_u32 v1, s5, v0, 3
	s_delay_alu instid0(VALU_DEP_1) | instskip(NEXT) | instid1(VALU_DEP_1)
	v_lshlrev_b64 v[1:2], 2, v[1:2]
	v_add_co_u32 v5, vcc_lo, s0, v1
	s_delay_alu instid0(VALU_DEP_2)
	v_add_co_ci_u32_e32 v6, vcc_lo, s1, v2, vcc_lo
	v_cmp_gt_u32_e64 s1, 6, v11
	v_cmp_eq_u32_e32 vcc_lo, 0, v14
	v_cmp_gt_u32_e64 s0, 32, v0
	s_clause 0x1
	global_load_b128 v[1:4], v[5:6], off
	global_load_b128 v[5:8], v[5:6], off offset:16
	v_cndmask_b32_e64 v12, 0, 1, s1
	v_cmp_gt_u32_e64 s1, 4, v11
	s_delay_alu instid0(VALU_DEP_2) | instskip(NEXT) | instid1(VALU_DEP_2)
	v_dual_mov_b32 v9, 0x7c :: v_dual_lshlrev_b32 v16, 1, v12
	v_cndmask_b32_e64 v13, 0, 1, s1
	v_cmp_ne_u32_e64 s1, 7, v11
	v_lshlrev_b32_e32 v11, 2, v11
	s_delay_alu instid0(VALU_DEP_3) | instskip(NEXT) | instid1(VALU_DEP_3)
	v_lshlrev_b32_e32 v17, 2, v13
	v_add_co_ci_u32_e64 v15, s1, 0, v14, s1
	v_add_lshl_u32 v13, v16, v14, 2
	s_movk_i32 s1, 0x64
	s_delay_alu instid0(VALU_DEP_3) | instskip(NEXT) | instid1(VALU_DEP_3)
	v_add_lshl_u32 v14, v17, v14, 2
	v_lshlrev_b32_e32 v12, 2, v15
	s_set_inst_prefetch_distance 0x1
	s_branch .LBB39_2
	.p2align	6
.LBB39_1:                               ;   in Loop: Header=BB39_2 Depth=1
	s_or_b32 exec_lo, exec_lo, s5
	s_add_i32 s1, s1, -1
	s_delay_alu instid0(SALU_CYCLE_1)
	s_cmp_eq_u32 s1, 0
	s_cbranch_scc1 .LBB39_6
.LBB39_2:                               ; =>This Inner Loop Header: Depth=1
	s_waitcnt vmcnt(1)
	v_add_nc_u32_e32 v1, v2, v1
	s_delay_alu instid0(VALU_DEP_1) | instskip(SKIP_1) | instid1(VALU_DEP_1)
	v_add3_u32 v1, v1, v3, v4
	s_waitcnt vmcnt(0)
	v_add3_u32 v1, v1, v5, v6
	s_delay_alu instid0(VALU_DEP_1) | instskip(NEXT) | instid1(VALU_DEP_1)
	v_add3_u32 v1, v1, v7, v8
	v_mov_b32_dpp v15, v1 quad_perm:[1,0,3,2] row_mask:0xf bank_mask:0xf
	s_delay_alu instid0(VALU_DEP_1) | instskip(NEXT) | instid1(VALU_DEP_1)
	v_add_nc_u32_e32 v1, v1, v15
	v_mov_b32_dpp v15, v1 quad_perm:[2,3,0,1] row_mask:0xf bank_mask:0xf
	s_delay_alu instid0(VALU_DEP_1) | instskip(NEXT) | instid1(VALU_DEP_1)
	v_add_nc_u32_e32 v1, v1, v15
	v_mov_b32_dpp v15, v1 row_ror:4 row_mask:0xf bank_mask:0xf
	s_delay_alu instid0(VALU_DEP_1) | instskip(NEXT) | instid1(VALU_DEP_1)
	v_add_nc_u32_e32 v1, v1, v15
	v_mov_b32_dpp v15, v1 row_ror:8 row_mask:0xf bank_mask:0xf
	s_delay_alu instid0(VALU_DEP_1)
	v_add_nc_u32_e32 v1, v1, v15
	ds_swizzle_b32 v15, v1 offset:swizzle(BROADCAST,32,15)
	s_waitcnt lgkmcnt(0)
	v_add_nc_u32_e32 v1, v1, v15
	ds_bpermute_b32 v1, v9, v1
	s_and_saveexec_b32 s5, vcc_lo
	s_cbranch_execz .LBB39_4
; %bb.3:                                ;   in Loop: Header=BB39_2 Depth=1
	s_waitcnt lgkmcnt(0)
	ds_store_b32 v10, v1
.LBB39_4:                               ;   in Loop: Header=BB39_2 Depth=1
	s_or_b32 exec_lo, exec_lo, s5
	s_waitcnt lgkmcnt(0)
	s_barrier
	buffer_gl0_inv
	s_and_saveexec_b32 s5, s0
	s_cbranch_execz .LBB39_1
; %bb.5:                                ;   in Loop: Header=BB39_2 Depth=1
	ds_load_b32 v1, v11
	s_waitcnt lgkmcnt(0)
	ds_bpermute_b32 v15, v12, v1
	s_waitcnt lgkmcnt(0)
	v_add_nc_u32_e32 v1, v15, v1
	ds_bpermute_b32 v15, v13, v1
	s_waitcnt lgkmcnt(0)
	v_add_nc_u32_e32 v1, v15, v1
	;; [unrolled: 3-line block ×3, first 2 shown]
	s_branch .LBB39_1
.LBB39_6:
	s_set_inst_prefetch_distance 0x2
	s_mov_b32 s5, 0
	s_mov_b32 s0, exec_lo
	v_cmpx_eq_u32_e32 0, v0
	s_cbranch_execz .LBB39_8
; %bb.7:
	s_lshl_b64 s[0:1], s[4:5], 2
	v_mov_b32_e32 v0, 0
	s_add_u32 s0, s2, s0
	s_addc_u32 s1, s3, s1
	global_store_b32 v0, v1, s[0:1]
.LBB39_8:
	s_nop 0
	s_sendmsg sendmsg(MSG_DEALLOC_VGPRS)
	s_endpgm
	.section	.rodata,"a",@progbits
	.p2align	6, 0x0
	.amdhsa_kernel _Z6kernelI6reduceILN6hipcub20BlockReduceAlgorithmE0EEiLj256ELj8ELj100EEvPKT0_PS4_
		.amdhsa_group_segment_fixed_size 32
		.amdhsa_private_segment_fixed_size 0
		.amdhsa_kernarg_size 272
		.amdhsa_user_sgpr_count 15
		.amdhsa_user_sgpr_dispatch_ptr 0
		.amdhsa_user_sgpr_queue_ptr 0
		.amdhsa_user_sgpr_kernarg_segment_ptr 1
		.amdhsa_user_sgpr_dispatch_id 0
		.amdhsa_user_sgpr_private_segment_size 0
		.amdhsa_wavefront_size32 1
		.amdhsa_uses_dynamic_stack 0
		.amdhsa_enable_private_segment 0
		.amdhsa_system_sgpr_workgroup_id_x 1
		.amdhsa_system_sgpr_workgroup_id_y 0
		.amdhsa_system_sgpr_workgroup_id_z 0
		.amdhsa_system_sgpr_workgroup_info 0
		.amdhsa_system_vgpr_workitem_id 0
		.amdhsa_next_free_vgpr 18
		.amdhsa_next_free_sgpr 16
		.amdhsa_reserve_vcc 1
		.amdhsa_float_round_mode_32 0
		.amdhsa_float_round_mode_16_64 0
		.amdhsa_float_denorm_mode_32 3
		.amdhsa_float_denorm_mode_16_64 3
		.amdhsa_dx10_clamp 1
		.amdhsa_ieee_mode 1
		.amdhsa_fp16_overflow 0
		.amdhsa_workgroup_processor_mode 1
		.amdhsa_memory_ordered 1
		.amdhsa_forward_progress 0
		.amdhsa_shared_vgpr_count 0
		.amdhsa_exception_fp_ieee_invalid_op 0
		.amdhsa_exception_fp_denorm_src 0
		.amdhsa_exception_fp_ieee_div_zero 0
		.amdhsa_exception_fp_ieee_overflow 0
		.amdhsa_exception_fp_ieee_underflow 0
		.amdhsa_exception_fp_ieee_inexact 0
		.amdhsa_exception_int_div_zero 0
	.end_amdhsa_kernel
	.section	.text._Z6kernelI6reduceILN6hipcub20BlockReduceAlgorithmE0EEiLj256ELj8ELj100EEvPKT0_PS4_,"axG",@progbits,_Z6kernelI6reduceILN6hipcub20BlockReduceAlgorithmE0EEiLj256ELj8ELj100EEvPKT0_PS4_,comdat
.Lfunc_end39:
	.size	_Z6kernelI6reduceILN6hipcub20BlockReduceAlgorithmE0EEiLj256ELj8ELj100EEvPKT0_PS4_, .Lfunc_end39-_Z6kernelI6reduceILN6hipcub20BlockReduceAlgorithmE0EEiLj256ELj8ELj100EEvPKT0_PS4_
                                        ; -- End function
	.section	.AMDGPU.csdata,"",@progbits
; Kernel info:
; codeLenInByte = 572
; NumSgprs: 18
; NumVgprs: 18
; ScratchSize: 0
; MemoryBound: 0
; FloatMode: 240
; IeeeMode: 1
; LDSByteSize: 32 bytes/workgroup (compile time only)
; SGPRBlocks: 2
; VGPRBlocks: 2
; NumSGPRsForWavesPerEU: 18
; NumVGPRsForWavesPerEU: 18
; Occupancy: 16
; WaveLimiterHint : 0
; COMPUTE_PGM_RSRC2:SCRATCH_EN: 0
; COMPUTE_PGM_RSRC2:USER_SGPR: 15
; COMPUTE_PGM_RSRC2:TRAP_HANDLER: 0
; COMPUTE_PGM_RSRC2:TGID_X_EN: 1
; COMPUTE_PGM_RSRC2:TGID_Y_EN: 0
; COMPUTE_PGM_RSRC2:TGID_Z_EN: 0
; COMPUTE_PGM_RSRC2:TIDIG_COMP_CNT: 0
	.section	.text._Z6kernelI6reduceILN6hipcub20BlockReduceAlgorithmE0EEiLj256ELj11ELj100EEvPKT0_PS4_,"axG",@progbits,_Z6kernelI6reduceILN6hipcub20BlockReduceAlgorithmE0EEiLj256ELj11ELj100EEvPKT0_PS4_,comdat
	.protected	_Z6kernelI6reduceILN6hipcub20BlockReduceAlgorithmE0EEiLj256ELj11ELj100EEvPKT0_PS4_ ; -- Begin function _Z6kernelI6reduceILN6hipcub20BlockReduceAlgorithmE0EEiLj256ELj11ELj100EEvPKT0_PS4_
	.globl	_Z6kernelI6reduceILN6hipcub20BlockReduceAlgorithmE0EEiLj256ELj11ELj100EEvPKT0_PS4_
	.p2align	8
	.type	_Z6kernelI6reduceILN6hipcub20BlockReduceAlgorithmE0EEiLj256ELj11ELj100EEvPKT0_PS4_,@function
_Z6kernelI6reduceILN6hipcub20BlockReduceAlgorithmE0EEiLj256ELj11ELj100EEvPKT0_PS4_: ; @_Z6kernelI6reduceILN6hipcub20BlockReduceAlgorithmE0EEiLj256ELj11ELj100EEvPKT0_PS4_
; %bb.0:
	s_load_b32 s2, s[0:1], 0x1c
	s_mov_b32 s4, s15
	s_waitcnt lgkmcnt(0)
	s_and_b32 s2, s2, 0xffff
	s_delay_alu instid0(SALU_CYCLE_1) | instskip(SKIP_1) | instid1(VALU_DEP_1)
	v_mad_u64_u32 v[1:2], null, s4, s2, v[0:1]
	s_load_b128 s[0:3], s[0:1], 0x0
	v_mul_lo_u32 v1, v1, 11
	s_delay_alu instid0(VALU_DEP_1) | instskip(NEXT) | instid1(VALU_DEP_1)
	v_dual_mov_b32 v2, 0 :: v_dual_add_nc_u32 v3, 1, v1
	v_dual_mov_b32 v4, v2 :: v_dual_add_nc_u32 v5, 2, v1
	;; [unrolled: 1-line block ×4, first 2 shown]
	s_delay_alu instid0(VALU_DEP_3) | instskip(NEXT) | instid1(VALU_DEP_3)
	v_lshlrev_b64 v[3:4], 2, v[3:4]
	v_lshlrev_b64 v[5:6], 2, v[5:6]
	v_dual_mov_b32 v10, v2 :: v_dual_add_nc_u32 v11, 5, v1
	s_delay_alu instid0(VALU_DEP_4)
	v_lshlrev_b64 v[7:8], 2, v[7:8]
	v_dual_mov_b32 v12, v2 :: v_dual_add_nc_u32 v13, 6, v1
	s_waitcnt lgkmcnt(0)
	v_add_co_u32 v3, vcc_lo, s0, v3
	v_add_co_ci_u32_e32 v4, vcc_lo, s1, v4, vcc_lo
	v_lshlrev_b64 v[9:10], 2, v[9:10]
	v_add_co_u32 v5, vcc_lo, s0, v5
	v_dual_mov_b32 v14, v2 :: v_dual_add_nc_u32 v15, 7, v1
	v_add_co_ci_u32_e32 v6, vcc_lo, s1, v6, vcc_lo
	v_lshlrev_b64 v[11:12], 2, v[11:12]
	v_add_co_u32 v7, vcc_lo, s0, v7
	v_dual_mov_b32 v16, v2 :: v_dual_add_nc_u32 v19, 8, v1
	;; [unrolled: 4-line block ×3, first 2 shown]
	v_add_co_ci_u32_e32 v10, vcc_lo, s1, v10, vcc_lo
	v_lshlrev_b64 v[15:16], 2, v[15:16]
	v_add_co_u32 v11, vcc_lo, s0, v11
	v_add_co_ci_u32_e32 v12, vcc_lo, s1, v12, vcc_lo
	v_add_co_u32 v13, vcc_lo, s0, v13
	v_lshlrev_b64 v[19:20], 2, v[19:20]
	v_mov_b32_e32 v22, v2
	v_add_co_ci_u32_e32 v14, vcc_lo, s1, v14, vcc_lo
	v_add_co_u32 v15, vcc_lo, s0, v15
	v_lshlrev_b64 v[17:18], 2, v[1:2]
	v_add_nc_u32_e32 v1, 10, v1
	v_add_co_ci_u32_e32 v16, vcc_lo, s1, v16, vcc_lo
	v_add_co_u32 v19, vcc_lo, s0, v19
	v_lshlrev_b64 v[21:22], 2, v[21:22]
	v_add_co_ci_u32_e32 v20, vcc_lo, s1, v20, vcc_lo
	s_clause 0x7
	global_load_b32 v23, v[3:4], off
	global_load_b32 v24, v[5:6], off
	;; [unrolled: 1-line block ×8, first 2 shown]
	v_lshlrev_b64 v[1:2], 2, v[1:2]
	v_mbcnt_lo_u32_b32 v15, -1, 0
	v_add_co_u32 v3, vcc_lo, s0, v21
	v_add_co_ci_u32_e32 v4, vcc_lo, s1, v22, vcc_lo
	s_delay_alu instid0(VALU_DEP_4)
	v_add_co_u32 v1, vcc_lo, s0, v1
	v_add_co_ci_u32_e32 v2, vcc_lo, s1, v2, vcc_lo
	v_add_co_u32 v5, vcc_lo, s0, v17
	v_add_co_ci_u32_e32 v6, vcc_lo, s1, v18, vcc_lo
	s_clause 0x2
	global_load_b32 v13, v[3:4], off
	global_load_b32 v14, v[1:2], off
	;; [unrolled: 1-line block ×3, first 2 shown]
	v_dual_mov_b32 v2, 0x7c :: v_dual_and_b32 v5, 7, v15
	v_lshrrev_b32_e32 v3, 3, v0
	v_cmp_eq_u32_e32 vcc_lo, 0, v15
	v_cmp_gt_u32_e64 s0, 32, v0
	s_delay_alu instid0(VALU_DEP_4) | instskip(NEXT) | instid1(VALU_DEP_4)
	v_cmp_gt_u32_e64 s1, 6, v5
	v_and_b32_e32 v3, 28, v3
	s_delay_alu instid0(VALU_DEP_2) | instskip(SKIP_1) | instid1(VALU_DEP_2)
	v_cndmask_b32_e64 v6, 0, 1, s1
	v_cmp_gt_u32_e64 s1, 4, v5
	v_lshlrev_b32_e32 v6, 1, v6
	s_delay_alu instid0(VALU_DEP_1) | instskip(SKIP_3) | instid1(VALU_DEP_1)
	v_add_lshl_u32 v6, v6, v15, 2
	s_waitcnt vmcnt(9)
	v_add_nc_u32_e32 v4, v24, v23
	s_waitcnt vmcnt(7)
	v_add3_u32 v4, v4, v7, v8
	v_cndmask_b32_e64 v7, 0, 1, s1
	v_cmp_ne_u32_e64 s1, 7, v5
	s_waitcnt vmcnt(5)
	s_delay_alu instid0(VALU_DEP_3) | instskip(NEXT) | instid1(VALU_DEP_3)
	v_add3_u32 v4, v4, v9, v10
	v_lshlrev_b32_e32 v7, 2, v7
	s_delay_alu instid0(VALU_DEP_3)
	v_add_co_ci_u32_e64 v8, s1, 0, v15, s1
	s_movk_i32 s1, 0x64
	s_waitcnt vmcnt(3)
	v_add3_u32 v9, v4, v11, v12
	v_lshlrev_b32_e32 v4, 2, v5
	v_lshlrev_b32_e32 v5, 2, v8
	v_add_lshl_u32 v7, v7, v15, 2
	s_waitcnt vmcnt(1)
	v_add3_u32 v8, v9, v13, v14
	s_set_inst_prefetch_distance 0x1
	s_branch .LBB40_2
	.p2align	6
.LBB40_1:                               ;   in Loop: Header=BB40_2 Depth=1
	s_or_b32 exec_lo, exec_lo, s5
	s_add_i32 s1, s1, -1
	s_delay_alu instid0(SALU_CYCLE_1)
	s_cmp_eq_u32 s1, 0
	s_cbranch_scc1 .LBB40_6
.LBB40_2:                               ; =>This Inner Loop Header: Depth=1
	s_waitcnt vmcnt(0)
	s_delay_alu instid0(VALU_DEP_1) | instskip(NEXT) | instid1(VALU_DEP_1)
	v_add_nc_u32_e32 v1, v8, v1
	v_mov_b32_dpp v9, v1 quad_perm:[1,0,3,2] row_mask:0xf bank_mask:0xf
	s_delay_alu instid0(VALU_DEP_1) | instskip(NEXT) | instid1(VALU_DEP_1)
	v_add_nc_u32_e32 v1, v1, v9
	v_mov_b32_dpp v9, v1 quad_perm:[2,3,0,1] row_mask:0xf bank_mask:0xf
	s_delay_alu instid0(VALU_DEP_1) | instskip(NEXT) | instid1(VALU_DEP_1)
	v_add_nc_u32_e32 v1, v1, v9
	v_mov_b32_dpp v9, v1 row_ror:4 row_mask:0xf bank_mask:0xf
	s_delay_alu instid0(VALU_DEP_1) | instskip(NEXT) | instid1(VALU_DEP_1)
	v_add_nc_u32_e32 v1, v1, v9
	v_mov_b32_dpp v9, v1 row_ror:8 row_mask:0xf bank_mask:0xf
	s_delay_alu instid0(VALU_DEP_1)
	v_add_nc_u32_e32 v1, v1, v9
	ds_swizzle_b32 v9, v1 offset:swizzle(BROADCAST,32,15)
	s_waitcnt lgkmcnt(0)
	v_add_nc_u32_e32 v1, v1, v9
	ds_bpermute_b32 v1, v2, v1
	s_and_saveexec_b32 s5, vcc_lo
	s_cbranch_execz .LBB40_4
; %bb.3:                                ;   in Loop: Header=BB40_2 Depth=1
	s_waitcnt lgkmcnt(0)
	ds_store_b32 v3, v1
.LBB40_4:                               ;   in Loop: Header=BB40_2 Depth=1
	s_or_b32 exec_lo, exec_lo, s5
	s_waitcnt lgkmcnt(0)
	s_barrier
	buffer_gl0_inv
	s_and_saveexec_b32 s5, s0
	s_cbranch_execz .LBB40_1
; %bb.5:                                ;   in Loop: Header=BB40_2 Depth=1
	ds_load_b32 v1, v4
	s_waitcnt lgkmcnt(0)
	ds_bpermute_b32 v9, v5, v1
	s_waitcnt lgkmcnt(0)
	v_add_nc_u32_e32 v1, v9, v1
	ds_bpermute_b32 v9, v6, v1
	s_waitcnt lgkmcnt(0)
	v_add_nc_u32_e32 v1, v9, v1
	;; [unrolled: 3-line block ×3, first 2 shown]
	s_branch .LBB40_1
.LBB40_6:
	s_set_inst_prefetch_distance 0x2
	s_mov_b32 s5, 0
	s_mov_b32 s0, exec_lo
	v_cmpx_eq_u32_e32 0, v0
	s_cbranch_execz .LBB40_8
; %bb.7:
	s_lshl_b64 s[0:1], s[4:5], 2
	v_mov_b32_e32 v0, 0
	s_add_u32 s0, s2, s0
	s_addc_u32 s1, s3, s1
	global_store_b32 v0, v1, s[0:1]
.LBB40_8:
	s_nop 0
	s_sendmsg sendmsg(MSG_DEALLOC_VGPRS)
	s_endpgm
	.section	.rodata,"a",@progbits
	.p2align	6, 0x0
	.amdhsa_kernel _Z6kernelI6reduceILN6hipcub20BlockReduceAlgorithmE0EEiLj256ELj11ELj100EEvPKT0_PS4_
		.amdhsa_group_segment_fixed_size 32
		.amdhsa_private_segment_fixed_size 0
		.amdhsa_kernarg_size 272
		.amdhsa_user_sgpr_count 15
		.amdhsa_user_sgpr_dispatch_ptr 0
		.amdhsa_user_sgpr_queue_ptr 0
		.amdhsa_user_sgpr_kernarg_segment_ptr 1
		.amdhsa_user_sgpr_dispatch_id 0
		.amdhsa_user_sgpr_private_segment_size 0
		.amdhsa_wavefront_size32 1
		.amdhsa_uses_dynamic_stack 0
		.amdhsa_enable_private_segment 0
		.amdhsa_system_sgpr_workgroup_id_x 1
		.amdhsa_system_sgpr_workgroup_id_y 0
		.amdhsa_system_sgpr_workgroup_id_z 0
		.amdhsa_system_sgpr_workgroup_info 0
		.amdhsa_system_vgpr_workitem_id 0
		.amdhsa_next_free_vgpr 25
		.amdhsa_next_free_sgpr 16
		.amdhsa_reserve_vcc 1
		.amdhsa_float_round_mode_32 0
		.amdhsa_float_round_mode_16_64 0
		.amdhsa_float_denorm_mode_32 3
		.amdhsa_float_denorm_mode_16_64 3
		.amdhsa_dx10_clamp 1
		.amdhsa_ieee_mode 1
		.amdhsa_fp16_overflow 0
		.amdhsa_workgroup_processor_mode 1
		.amdhsa_memory_ordered 1
		.amdhsa_forward_progress 0
		.amdhsa_shared_vgpr_count 0
		.amdhsa_exception_fp_ieee_invalid_op 0
		.amdhsa_exception_fp_denorm_src 0
		.amdhsa_exception_fp_ieee_div_zero 0
		.amdhsa_exception_fp_ieee_overflow 0
		.amdhsa_exception_fp_ieee_underflow 0
		.amdhsa_exception_fp_ieee_inexact 0
		.amdhsa_exception_int_div_zero 0
	.end_amdhsa_kernel
	.section	.text._Z6kernelI6reduceILN6hipcub20BlockReduceAlgorithmE0EEiLj256ELj11ELj100EEvPKT0_PS4_,"axG",@progbits,_Z6kernelI6reduceILN6hipcub20BlockReduceAlgorithmE0EEiLj256ELj11ELj100EEvPKT0_PS4_,comdat
.Lfunc_end40:
	.size	_Z6kernelI6reduceILN6hipcub20BlockReduceAlgorithmE0EEiLj256ELj11ELj100EEvPKT0_PS4_, .Lfunc_end40-_Z6kernelI6reduceILN6hipcub20BlockReduceAlgorithmE0EEiLj256ELj11ELj100EEvPKT0_PS4_
                                        ; -- End function
	.section	.AMDGPU.csdata,"",@progbits
; Kernel info:
; codeLenInByte = 964
; NumSgprs: 18
; NumVgprs: 25
; ScratchSize: 0
; MemoryBound: 0
; FloatMode: 240
; IeeeMode: 1
; LDSByteSize: 32 bytes/workgroup (compile time only)
; SGPRBlocks: 2
; VGPRBlocks: 3
; NumSGPRsForWavesPerEU: 18
; NumVGPRsForWavesPerEU: 25
; Occupancy: 16
; WaveLimiterHint : 0
; COMPUTE_PGM_RSRC2:SCRATCH_EN: 0
; COMPUTE_PGM_RSRC2:USER_SGPR: 15
; COMPUTE_PGM_RSRC2:TRAP_HANDLER: 0
; COMPUTE_PGM_RSRC2:TGID_X_EN: 1
; COMPUTE_PGM_RSRC2:TGID_Y_EN: 0
; COMPUTE_PGM_RSRC2:TGID_Z_EN: 0
; COMPUTE_PGM_RSRC2:TIDIG_COMP_CNT: 0
	.section	.text._Z6kernelI6reduceILN6hipcub20BlockReduceAlgorithmE0EEiLj256ELj16ELj100EEvPKT0_PS4_,"axG",@progbits,_Z6kernelI6reduceILN6hipcub20BlockReduceAlgorithmE0EEiLj256ELj16ELj100EEvPKT0_PS4_,comdat
	.protected	_Z6kernelI6reduceILN6hipcub20BlockReduceAlgorithmE0EEiLj256ELj16ELj100EEvPKT0_PS4_ ; -- Begin function _Z6kernelI6reduceILN6hipcub20BlockReduceAlgorithmE0EEiLj256ELj16ELj100EEvPKT0_PS4_
	.globl	_Z6kernelI6reduceILN6hipcub20BlockReduceAlgorithmE0EEiLj256ELj16ELj100EEvPKT0_PS4_
	.p2align	8
	.type	_Z6kernelI6reduceILN6hipcub20BlockReduceAlgorithmE0EEiLj256ELj16ELj100EEvPKT0_PS4_,@function
_Z6kernelI6reduceILN6hipcub20BlockReduceAlgorithmE0EEiLj256ELj16ELj100EEvPKT0_PS4_: ; @_Z6kernelI6reduceILN6hipcub20BlockReduceAlgorithmE0EEiLj256ELj16ELj100EEvPKT0_PS4_
; %bb.0:
	s_clause 0x1
	s_load_b32 s5, s[0:1], 0x1c
	s_load_b128 s[0:3], s[0:1], 0x0
	v_mov_b32_e32 v2, 0
	v_mbcnt_lo_u32_b32 v17, -1, 0
	s_mov_b32 s4, s15
	s_waitcnt lgkmcnt(0)
	s_and_b32 s5, s5, 0xffff
	s_delay_alu instid0(SALU_CYCLE_1) | instskip(NEXT) | instid1(SALU_CYCLE_1)
	s_mul_i32 s5, s15, s5
	v_add_lshl_u32 v1, s5, v0, 4
	s_delay_alu instid0(VALU_DEP_1) | instskip(NEXT) | instid1(VALU_DEP_1)
	v_lshlrev_b64 v[1:2], 2, v[1:2]
	v_add_co_u32 v13, vcc_lo, s0, v1
	s_delay_alu instid0(VALU_DEP_2)
	v_add_co_ci_u32_e32 v14, vcc_lo, s1, v2, vcc_lo
	v_cmp_eq_u32_e32 vcc_lo, 0, v17
	v_cmp_gt_u32_e64 s0, 32, v0
	s_clause 0x3
	global_load_b128 v[1:4], v[13:14], off
	global_load_b128 v[5:8], v[13:14], off offset:16
	global_load_b128 v[9:12], v[13:14], off offset:32
	;; [unrolled: 1-line block ×3, first 2 shown]
	s_waitcnt vmcnt(3)
	v_add3_u32 v2, v3, v2, v4
	v_lshrrev_b32_e32 v4, 3, v0
	s_waitcnt vmcnt(2)
	s_delay_alu instid0(VALU_DEP_2) | instskip(SKIP_1) | instid1(VALU_DEP_2)
	v_add3_u32 v3, v2, v5, v6
	v_and_b32_e32 v6, 7, v17
	v_add3_u32 v5, v3, v7, v8
	v_and_b32_e32 v3, 28, v4
	s_delay_alu instid0(VALU_DEP_3) | instskip(SKIP_1) | instid1(VALU_DEP_3)
	v_cmp_gt_u32_e64 s1, 6, v6
	s_waitcnt vmcnt(1)
	v_add3_u32 v4, v5, v9, v10
	s_delay_alu instid0(VALU_DEP_2) | instskip(SKIP_2) | instid1(VALU_DEP_4)
	v_cndmask_b32_e64 v5, 0, 1, s1
	v_cmp_gt_u32_e64 s1, 4, v6
	v_mov_b32_e32 v2, 0x7c
	v_add3_u32 v4, v4, v11, v12
	s_delay_alu instid0(VALU_DEP_4) | instskip(NEXT) | instid1(VALU_DEP_4)
	v_lshlrev_b32_e32 v9, 1, v5
	v_cndmask_b32_e64 v7, 0, 1, s1
	v_cmp_ne_u32_e64 s1, 7, v6
	s_waitcnt vmcnt(0)
	v_add3_u32 v10, v4, v13, v14
	v_lshlrev_b32_e32 v4, 2, v6
	v_add_lshl_u32 v6, v9, v17, 2
	v_lshlrev_b32_e32 v7, 2, v7
	v_add_co_ci_u32_e64 v8, s1, 0, v17, s1
	s_movk_i32 s1, 0x64
	s_delay_alu instid0(VALU_DEP_2) | instskip(NEXT) | instid1(VALU_DEP_2)
	v_add_lshl_u32 v7, v7, v17, 2
	v_lshlrev_b32_e32 v5, 2, v8
	v_add3_u32 v8, v10, v15, v16
	s_set_inst_prefetch_distance 0x1
	s_branch .LBB41_2
	.p2align	6
.LBB41_1:                               ;   in Loop: Header=BB41_2 Depth=1
	s_or_b32 exec_lo, exec_lo, s5
	s_add_i32 s1, s1, -1
	s_delay_alu instid0(SALU_CYCLE_1)
	s_cmp_eq_u32 s1, 0
	s_cbranch_scc1 .LBB41_6
.LBB41_2:                               ; =>This Inner Loop Header: Depth=1
	s_delay_alu instid0(VALU_DEP_1) | instskip(NEXT) | instid1(VALU_DEP_1)
	v_add_nc_u32_e32 v1, v8, v1
	v_mov_b32_dpp v9, v1 quad_perm:[1,0,3,2] row_mask:0xf bank_mask:0xf
	s_delay_alu instid0(VALU_DEP_1) | instskip(NEXT) | instid1(VALU_DEP_1)
	v_add_nc_u32_e32 v1, v1, v9
	v_mov_b32_dpp v9, v1 quad_perm:[2,3,0,1] row_mask:0xf bank_mask:0xf
	s_delay_alu instid0(VALU_DEP_1) | instskip(NEXT) | instid1(VALU_DEP_1)
	v_add_nc_u32_e32 v1, v1, v9
	v_mov_b32_dpp v9, v1 row_ror:4 row_mask:0xf bank_mask:0xf
	s_delay_alu instid0(VALU_DEP_1) | instskip(NEXT) | instid1(VALU_DEP_1)
	v_add_nc_u32_e32 v1, v1, v9
	v_mov_b32_dpp v9, v1 row_ror:8 row_mask:0xf bank_mask:0xf
	s_delay_alu instid0(VALU_DEP_1)
	v_add_nc_u32_e32 v1, v1, v9
	ds_swizzle_b32 v9, v1 offset:swizzle(BROADCAST,32,15)
	s_waitcnt lgkmcnt(0)
	v_add_nc_u32_e32 v1, v1, v9
	ds_bpermute_b32 v1, v2, v1
	s_and_saveexec_b32 s5, vcc_lo
	s_cbranch_execz .LBB41_4
; %bb.3:                                ;   in Loop: Header=BB41_2 Depth=1
	s_waitcnt lgkmcnt(0)
	ds_store_b32 v3, v1
.LBB41_4:                               ;   in Loop: Header=BB41_2 Depth=1
	s_or_b32 exec_lo, exec_lo, s5
	s_waitcnt lgkmcnt(0)
	s_barrier
	buffer_gl0_inv
	s_and_saveexec_b32 s5, s0
	s_cbranch_execz .LBB41_1
; %bb.5:                                ;   in Loop: Header=BB41_2 Depth=1
	ds_load_b32 v1, v4
	s_waitcnt lgkmcnt(0)
	ds_bpermute_b32 v9, v5, v1
	s_waitcnt lgkmcnt(0)
	v_add_nc_u32_e32 v1, v9, v1
	ds_bpermute_b32 v9, v6, v1
	s_waitcnt lgkmcnt(0)
	v_add_nc_u32_e32 v1, v9, v1
	ds_bpermute_b32 v9, v7, v1
	s_waitcnt lgkmcnt(0)
	v_add_nc_u32_e32 v1, v9, v1
	s_branch .LBB41_1
.LBB41_6:
	s_set_inst_prefetch_distance 0x2
	s_mov_b32 s5, 0
	s_mov_b32 s0, exec_lo
	v_cmpx_eq_u32_e32 0, v0
	s_cbranch_execz .LBB41_8
; %bb.7:
	s_lshl_b64 s[0:1], s[4:5], 2
	v_mov_b32_e32 v0, 0
	s_add_u32 s0, s2, s0
	s_addc_u32 s1, s3, s1
	global_store_b32 v0, v1, s[0:1]
.LBB41_8:
	s_nop 0
	s_sendmsg sendmsg(MSG_DEALLOC_VGPRS)
	s_endpgm
	.section	.rodata,"a",@progbits
	.p2align	6, 0x0
	.amdhsa_kernel _Z6kernelI6reduceILN6hipcub20BlockReduceAlgorithmE0EEiLj256ELj16ELj100EEvPKT0_PS4_
		.amdhsa_group_segment_fixed_size 32
		.amdhsa_private_segment_fixed_size 0
		.amdhsa_kernarg_size 272
		.amdhsa_user_sgpr_count 15
		.amdhsa_user_sgpr_dispatch_ptr 0
		.amdhsa_user_sgpr_queue_ptr 0
		.amdhsa_user_sgpr_kernarg_segment_ptr 1
		.amdhsa_user_sgpr_dispatch_id 0
		.amdhsa_user_sgpr_private_segment_size 0
		.amdhsa_wavefront_size32 1
		.amdhsa_uses_dynamic_stack 0
		.amdhsa_enable_private_segment 0
		.amdhsa_system_sgpr_workgroup_id_x 1
		.amdhsa_system_sgpr_workgroup_id_y 0
		.amdhsa_system_sgpr_workgroup_id_z 0
		.amdhsa_system_sgpr_workgroup_info 0
		.amdhsa_system_vgpr_workitem_id 0
		.amdhsa_next_free_vgpr 18
		.amdhsa_next_free_sgpr 16
		.amdhsa_reserve_vcc 1
		.amdhsa_float_round_mode_32 0
		.amdhsa_float_round_mode_16_64 0
		.amdhsa_float_denorm_mode_32 3
		.amdhsa_float_denorm_mode_16_64 3
		.amdhsa_dx10_clamp 1
		.amdhsa_ieee_mode 1
		.amdhsa_fp16_overflow 0
		.amdhsa_workgroup_processor_mode 1
		.amdhsa_memory_ordered 1
		.amdhsa_forward_progress 0
		.amdhsa_shared_vgpr_count 0
		.amdhsa_exception_fp_ieee_invalid_op 0
		.amdhsa_exception_fp_denorm_src 0
		.amdhsa_exception_fp_ieee_div_zero 0
		.amdhsa_exception_fp_ieee_overflow 0
		.amdhsa_exception_fp_ieee_underflow 0
		.amdhsa_exception_fp_ieee_inexact 0
		.amdhsa_exception_int_div_zero 0
	.end_amdhsa_kernel
	.section	.text._Z6kernelI6reduceILN6hipcub20BlockReduceAlgorithmE0EEiLj256ELj16ELj100EEvPKT0_PS4_,"axG",@progbits,_Z6kernelI6reduceILN6hipcub20BlockReduceAlgorithmE0EEiLj256ELj16ELj100EEvPKT0_PS4_,comdat
.Lfunc_end41:
	.size	_Z6kernelI6reduceILN6hipcub20BlockReduceAlgorithmE0EEiLj256ELj16ELj100EEvPKT0_PS4_, .Lfunc_end41-_Z6kernelI6reduceILN6hipcub20BlockReduceAlgorithmE0EEiLj256ELj16ELj100EEvPKT0_PS4_
                                        ; -- End function
	.section	.AMDGPU.csdata,"",@progbits
; Kernel info:
; codeLenInByte = 628
; NumSgprs: 18
; NumVgprs: 18
; ScratchSize: 0
; MemoryBound: 0
; FloatMode: 240
; IeeeMode: 1
; LDSByteSize: 32 bytes/workgroup (compile time only)
; SGPRBlocks: 2
; VGPRBlocks: 2
; NumSGPRsForWavesPerEU: 18
; NumVGPRsForWavesPerEU: 18
; Occupancy: 16
; WaveLimiterHint : 0
; COMPUTE_PGM_RSRC2:SCRATCH_EN: 0
; COMPUTE_PGM_RSRC2:USER_SGPR: 15
; COMPUTE_PGM_RSRC2:TRAP_HANDLER: 0
; COMPUTE_PGM_RSRC2:TGID_X_EN: 1
; COMPUTE_PGM_RSRC2:TGID_Y_EN: 0
; COMPUTE_PGM_RSRC2:TGID_Z_EN: 0
; COMPUTE_PGM_RSRC2:TIDIG_COMP_CNT: 0
	.section	.text._Z6kernelI6reduceILN6hipcub20BlockReduceAlgorithmE0EEfLj256ELj1ELj100EEvPKT0_PS4_,"axG",@progbits,_Z6kernelI6reduceILN6hipcub20BlockReduceAlgorithmE0EEfLj256ELj1ELj100EEvPKT0_PS4_,comdat
	.protected	_Z6kernelI6reduceILN6hipcub20BlockReduceAlgorithmE0EEfLj256ELj1ELj100EEvPKT0_PS4_ ; -- Begin function _Z6kernelI6reduceILN6hipcub20BlockReduceAlgorithmE0EEfLj256ELj1ELj100EEvPKT0_PS4_
	.globl	_Z6kernelI6reduceILN6hipcub20BlockReduceAlgorithmE0EEfLj256ELj1ELj100EEvPKT0_PS4_
	.p2align	8
	.type	_Z6kernelI6reduceILN6hipcub20BlockReduceAlgorithmE0EEfLj256ELj1ELj100EEvPKT0_PS4_,@function
_Z6kernelI6reduceILN6hipcub20BlockReduceAlgorithmE0EEfLj256ELj1ELj100EEvPKT0_PS4_: ; @_Z6kernelI6reduceILN6hipcub20BlockReduceAlgorithmE0EEfLj256ELj1ELj100EEvPKT0_PS4_
; %bb.0:
	s_clause 0x1
	s_load_b32 s5, s[0:1], 0x1c
	s_load_b128 s[0:3], s[0:1], 0x0
	s_mov_b32 s4, s15
	v_mbcnt_lo_u32_b32 v7, -1, 0
	v_lshrrev_b32_e32 v3, 3, v0
	s_delay_alu instid0(VALU_DEP_2) | instskip(NEXT) | instid1(VALU_DEP_2)
	v_and_b32_e32 v4, 7, v7
	v_and_b32_e32 v3, 28, v3
	s_waitcnt lgkmcnt(0)
	s_and_b32 s5, s5, 0xffff
	s_delay_alu instid0(SALU_CYCLE_1) | instskip(SKIP_1) | instid1(VALU_DEP_1)
	v_mad_u64_u32 v[1:2], null, s4, s5, v[0:1]
	v_mov_b32_e32 v2, 0
	v_lshlrev_b64 v[1:2], 2, v[1:2]
	s_delay_alu instid0(VALU_DEP_1) | instskip(NEXT) | instid1(VALU_DEP_2)
	v_add_co_u32 v1, vcc_lo, s0, v1
	v_add_co_ci_u32_e32 v2, vcc_lo, s1, v2, vcc_lo
	v_cmp_gt_u32_e64 s1, 6, v4
	v_cmp_eq_u32_e32 vcc_lo, 0, v7
	v_cmp_gt_u32_e64 s0, 32, v0
	global_load_b32 v1, v[1:2], off
	v_mov_b32_e32 v2, 0x7c
	v_cndmask_b32_e64 v5, 0, 1, s1
	v_cmp_gt_u32_e64 s1, 4, v4
	s_delay_alu instid0(VALU_DEP_2) | instskip(NEXT) | instid1(VALU_DEP_2)
	v_lshlrev_b32_e32 v9, 1, v5
	v_cndmask_b32_e64 v6, 0, 1, s1
	v_cmp_ne_u32_e64 s1, 7, v4
	v_lshlrev_b32_e32 v4, 2, v4
	s_delay_alu instid0(VALU_DEP_3) | instskip(NEXT) | instid1(VALU_DEP_3)
	v_lshlrev_b32_e32 v10, 2, v6
	v_add_co_ci_u32_e64 v8, s1, 0, v7, s1
	v_add_lshl_u32 v6, v9, v7, 2
	s_movk_i32 s1, 0x64
	s_delay_alu instid0(VALU_DEP_3) | instskip(NEXT) | instid1(VALU_DEP_3)
	v_add_lshl_u32 v7, v10, v7, 2
	v_lshlrev_b32_e32 v5, 2, v8
	s_set_inst_prefetch_distance 0x1
	s_branch .LBB42_2
	.p2align	6
.LBB42_1:                               ;   in Loop: Header=BB42_2 Depth=1
	s_or_b32 exec_lo, exec_lo, s5
	s_add_i32 s1, s1, -1
	s_delay_alu instid0(SALU_CYCLE_1)
	s_cmp_eq_u32 s1, 0
	s_cbranch_scc1 .LBB42_6
.LBB42_2:                               ; =>This Inner Loop Header: Depth=1
	s_waitcnt vmcnt(0)
	v_mov_b32_dpp v8, v1 quad_perm:[1,0,3,2] row_mask:0xf bank_mask:0xf
	s_delay_alu instid0(VALU_DEP_1) | instskip(NEXT) | instid1(VALU_DEP_1)
	v_add_f32_e32 v1, v1, v8
	v_mov_b32_dpp v8, v1 quad_perm:[2,3,0,1] row_mask:0xf bank_mask:0xf
	s_delay_alu instid0(VALU_DEP_1) | instskip(NEXT) | instid1(VALU_DEP_1)
	v_add_f32_e32 v1, v1, v8
	v_mov_b32_dpp v8, v1 row_ror:4 row_mask:0xf bank_mask:0xf
	s_delay_alu instid0(VALU_DEP_1) | instskip(NEXT) | instid1(VALU_DEP_1)
	v_add_f32_e32 v1, v1, v8
	v_mov_b32_dpp v8, v1 row_ror:8 row_mask:0xf bank_mask:0xf
	s_delay_alu instid0(VALU_DEP_1)
	v_add_f32_e32 v1, v1, v8
	ds_swizzle_b32 v8, v1 offset:swizzle(BROADCAST,32,15)
	s_waitcnt lgkmcnt(0)
	v_add_f32_e32 v1, v1, v8
	ds_bpermute_b32 v1, v2, v1
	s_and_saveexec_b32 s5, vcc_lo
	s_cbranch_execz .LBB42_4
; %bb.3:                                ;   in Loop: Header=BB42_2 Depth=1
	s_waitcnt lgkmcnt(0)
	ds_store_b32 v3, v1
.LBB42_4:                               ;   in Loop: Header=BB42_2 Depth=1
	s_or_b32 exec_lo, exec_lo, s5
	s_waitcnt lgkmcnt(0)
	s_barrier
	buffer_gl0_inv
	s_and_saveexec_b32 s5, s0
	s_cbranch_execz .LBB42_1
; %bb.5:                                ;   in Loop: Header=BB42_2 Depth=1
	ds_load_b32 v1, v4
	s_waitcnt lgkmcnt(0)
	ds_bpermute_b32 v8, v5, v1
	s_waitcnt lgkmcnt(0)
	v_add_f32_e32 v1, v1, v8
	ds_bpermute_b32 v8, v6, v1
	s_waitcnt lgkmcnt(0)
	v_add_f32_e32 v1, v1, v8
	;; [unrolled: 3-line block ×3, first 2 shown]
	s_branch .LBB42_1
.LBB42_6:
	s_set_inst_prefetch_distance 0x2
	s_mov_b32 s5, 0
	s_mov_b32 s0, exec_lo
	v_cmpx_eq_u32_e32 0, v0
	s_cbranch_execz .LBB42_8
; %bb.7:
	s_lshl_b64 s[0:1], s[4:5], 2
	v_mov_b32_e32 v0, 0
	s_add_u32 s0, s2, s0
	s_addc_u32 s1, s3, s1
	global_store_b32 v0, v1, s[0:1]
.LBB42_8:
	s_nop 0
	s_sendmsg sendmsg(MSG_DEALLOC_VGPRS)
	s_endpgm
	.section	.rodata,"a",@progbits
	.p2align	6, 0x0
	.amdhsa_kernel _Z6kernelI6reduceILN6hipcub20BlockReduceAlgorithmE0EEfLj256ELj1ELj100EEvPKT0_PS4_
		.amdhsa_group_segment_fixed_size 32
		.amdhsa_private_segment_fixed_size 0
		.amdhsa_kernarg_size 272
		.amdhsa_user_sgpr_count 15
		.amdhsa_user_sgpr_dispatch_ptr 0
		.amdhsa_user_sgpr_queue_ptr 0
		.amdhsa_user_sgpr_kernarg_segment_ptr 1
		.amdhsa_user_sgpr_dispatch_id 0
		.amdhsa_user_sgpr_private_segment_size 0
		.amdhsa_wavefront_size32 1
		.amdhsa_uses_dynamic_stack 0
		.amdhsa_enable_private_segment 0
		.amdhsa_system_sgpr_workgroup_id_x 1
		.amdhsa_system_sgpr_workgroup_id_y 0
		.amdhsa_system_sgpr_workgroup_id_z 0
		.amdhsa_system_sgpr_workgroup_info 0
		.amdhsa_system_vgpr_workitem_id 0
		.amdhsa_next_free_vgpr 11
		.amdhsa_next_free_sgpr 16
		.amdhsa_reserve_vcc 1
		.amdhsa_float_round_mode_32 0
		.amdhsa_float_round_mode_16_64 0
		.amdhsa_float_denorm_mode_32 3
		.amdhsa_float_denorm_mode_16_64 3
		.amdhsa_dx10_clamp 1
		.amdhsa_ieee_mode 1
		.amdhsa_fp16_overflow 0
		.amdhsa_workgroup_processor_mode 1
		.amdhsa_memory_ordered 1
		.amdhsa_forward_progress 0
		.amdhsa_shared_vgpr_count 0
		.amdhsa_exception_fp_ieee_invalid_op 0
		.amdhsa_exception_fp_denorm_src 0
		.amdhsa_exception_fp_ieee_div_zero 0
		.amdhsa_exception_fp_ieee_overflow 0
		.amdhsa_exception_fp_ieee_underflow 0
		.amdhsa_exception_fp_ieee_inexact 0
		.amdhsa_exception_int_div_zero 0
	.end_amdhsa_kernel
	.section	.text._Z6kernelI6reduceILN6hipcub20BlockReduceAlgorithmE0EEfLj256ELj1ELj100EEvPKT0_PS4_,"axG",@progbits,_Z6kernelI6reduceILN6hipcub20BlockReduceAlgorithmE0EEfLj256ELj1ELj100EEvPKT0_PS4_,comdat
.Lfunc_end42:
	.size	_Z6kernelI6reduceILN6hipcub20BlockReduceAlgorithmE0EEfLj256ELj1ELj100EEvPKT0_PS4_, .Lfunc_end42-_Z6kernelI6reduceILN6hipcub20BlockReduceAlgorithmE0EEfLj256ELj1ELj100EEvPKT0_PS4_
                                        ; -- End function
	.section	.AMDGPU.csdata,"",@progbits
; Kernel info:
; codeLenInByte = 512
; NumSgprs: 18
; NumVgprs: 11
; ScratchSize: 0
; MemoryBound: 0
; FloatMode: 240
; IeeeMode: 1
; LDSByteSize: 32 bytes/workgroup (compile time only)
; SGPRBlocks: 2
; VGPRBlocks: 1
; NumSGPRsForWavesPerEU: 18
; NumVGPRsForWavesPerEU: 11
; Occupancy: 16
; WaveLimiterHint : 0
; COMPUTE_PGM_RSRC2:SCRATCH_EN: 0
; COMPUTE_PGM_RSRC2:USER_SGPR: 15
; COMPUTE_PGM_RSRC2:TRAP_HANDLER: 0
; COMPUTE_PGM_RSRC2:TGID_X_EN: 1
; COMPUTE_PGM_RSRC2:TGID_Y_EN: 0
; COMPUTE_PGM_RSRC2:TGID_Z_EN: 0
; COMPUTE_PGM_RSRC2:TIDIG_COMP_CNT: 0
	.section	.text._Z6kernelI6reduceILN6hipcub20BlockReduceAlgorithmE0EEfLj256ELj2ELj100EEvPKT0_PS4_,"axG",@progbits,_Z6kernelI6reduceILN6hipcub20BlockReduceAlgorithmE0EEfLj256ELj2ELj100EEvPKT0_PS4_,comdat
	.protected	_Z6kernelI6reduceILN6hipcub20BlockReduceAlgorithmE0EEfLj256ELj2ELj100EEvPKT0_PS4_ ; -- Begin function _Z6kernelI6reduceILN6hipcub20BlockReduceAlgorithmE0EEfLj256ELj2ELj100EEvPKT0_PS4_
	.globl	_Z6kernelI6reduceILN6hipcub20BlockReduceAlgorithmE0EEfLj256ELj2ELj100EEvPKT0_PS4_
	.p2align	8
	.type	_Z6kernelI6reduceILN6hipcub20BlockReduceAlgorithmE0EEfLj256ELj2ELj100EEvPKT0_PS4_,@function
_Z6kernelI6reduceILN6hipcub20BlockReduceAlgorithmE0EEfLj256ELj2ELj100EEvPKT0_PS4_: ; @_Z6kernelI6reduceILN6hipcub20BlockReduceAlgorithmE0EEfLj256ELj2ELj100EEvPKT0_PS4_
; %bb.0:
	s_clause 0x1
	s_load_b32 s5, s[0:1], 0x1c
	s_load_b128 s[0:3], s[0:1], 0x0
	v_mbcnt_lo_u32_b32 v8, -1, 0
	v_mov_b32_e32 v2, 0
	v_lshrrev_b32_e32 v4, 3, v0
	s_mov_b32 s4, s15
	s_delay_alu instid0(VALU_DEP_3) | instskip(NEXT) | instid1(VALU_DEP_2)
	v_and_b32_e32 v5, 7, v8
	v_and_b32_e32 v4, 28, v4
	s_waitcnt lgkmcnt(0)
	s_and_b32 s5, s5, 0xffff
	s_delay_alu instid0(SALU_CYCLE_1) | instskip(NEXT) | instid1(SALU_CYCLE_1)
	s_mul_i32 s5, s15, s5
	v_add_lshl_u32 v1, s5, v0, 1
	s_delay_alu instid0(VALU_DEP_1) | instskip(NEXT) | instid1(VALU_DEP_1)
	v_lshlrev_b64 v[1:2], 2, v[1:2]
	v_add_co_u32 v1, vcc_lo, s0, v1
	s_delay_alu instid0(VALU_DEP_2)
	v_add_co_ci_u32_e32 v2, vcc_lo, s1, v2, vcc_lo
	v_cmp_gt_u32_e64 s1, 6, v5
	v_cmp_eq_u32_e32 vcc_lo, 0, v8
	v_cmp_gt_u32_e64 s0, 32, v0
	global_load_b64 v[1:2], v[1:2], off
	v_cndmask_b32_e64 v6, 0, 1, s1
	v_cmp_gt_u32_e64 s1, 4, v5
	s_delay_alu instid0(VALU_DEP_2) | instskip(NEXT) | instid1(VALU_DEP_2)
	v_dual_mov_b32 v3, 0x7c :: v_dual_lshlrev_b32 v10, 1, v6
	v_cndmask_b32_e64 v7, 0, 1, s1
	v_cmp_ne_u32_e64 s1, 7, v5
	v_lshlrev_b32_e32 v5, 2, v5
	s_delay_alu instid0(VALU_DEP_3) | instskip(NEXT) | instid1(VALU_DEP_3)
	v_lshlrev_b32_e32 v11, 2, v7
	v_add_co_ci_u32_e64 v9, s1, 0, v8, s1
	v_add_lshl_u32 v7, v10, v8, 2
	s_movk_i32 s1, 0x64
	s_delay_alu instid0(VALU_DEP_3) | instskip(NEXT) | instid1(VALU_DEP_3)
	v_add_lshl_u32 v8, v11, v8, 2
	v_lshlrev_b32_e32 v6, 2, v9
	s_set_inst_prefetch_distance 0x1
	s_branch .LBB43_2
	.p2align	6
.LBB43_1:                               ;   in Loop: Header=BB43_2 Depth=1
	s_or_b32 exec_lo, exec_lo, s5
	s_add_i32 s1, s1, -1
	s_delay_alu instid0(SALU_CYCLE_1)
	s_cmp_eq_u32 s1, 0
	s_cbranch_scc1 .LBB43_6
.LBB43_2:                               ; =>This Inner Loop Header: Depth=1
	s_waitcnt vmcnt(0)
	v_add_f32_e32 v1, v1, v2
	s_delay_alu instid0(VALU_DEP_1) | instskip(NEXT) | instid1(VALU_DEP_1)
	v_mov_b32_dpp v9, v1 quad_perm:[1,0,3,2] row_mask:0xf bank_mask:0xf
	v_add_f32_e32 v1, v1, v9
	s_delay_alu instid0(VALU_DEP_1) | instskip(NEXT) | instid1(VALU_DEP_1)
	v_mov_b32_dpp v9, v1 quad_perm:[2,3,0,1] row_mask:0xf bank_mask:0xf
	v_add_f32_e32 v1, v1, v9
	s_delay_alu instid0(VALU_DEP_1) | instskip(NEXT) | instid1(VALU_DEP_1)
	v_mov_b32_dpp v9, v1 row_ror:4 row_mask:0xf bank_mask:0xf
	v_add_f32_e32 v1, v1, v9
	s_delay_alu instid0(VALU_DEP_1) | instskip(NEXT) | instid1(VALU_DEP_1)
	v_mov_b32_dpp v9, v1 row_ror:8 row_mask:0xf bank_mask:0xf
	v_add_f32_e32 v1, v1, v9
	ds_swizzle_b32 v9, v1 offset:swizzle(BROADCAST,32,15)
	s_waitcnt lgkmcnt(0)
	v_add_f32_e32 v1, v1, v9
	ds_bpermute_b32 v1, v3, v1
	s_and_saveexec_b32 s5, vcc_lo
	s_cbranch_execz .LBB43_4
; %bb.3:                                ;   in Loop: Header=BB43_2 Depth=1
	s_waitcnt lgkmcnt(0)
	ds_store_b32 v4, v1
.LBB43_4:                               ;   in Loop: Header=BB43_2 Depth=1
	s_or_b32 exec_lo, exec_lo, s5
	s_waitcnt lgkmcnt(0)
	s_barrier
	buffer_gl0_inv
	s_and_saveexec_b32 s5, s0
	s_cbranch_execz .LBB43_1
; %bb.5:                                ;   in Loop: Header=BB43_2 Depth=1
	ds_load_b32 v1, v5
	s_waitcnt lgkmcnt(0)
	ds_bpermute_b32 v9, v6, v1
	s_waitcnt lgkmcnt(0)
	v_add_f32_e32 v1, v1, v9
	ds_bpermute_b32 v9, v7, v1
	s_waitcnt lgkmcnt(0)
	v_add_f32_e32 v1, v1, v9
	;; [unrolled: 3-line block ×3, first 2 shown]
	s_branch .LBB43_1
.LBB43_6:
	s_set_inst_prefetch_distance 0x2
	s_mov_b32 s5, 0
	s_mov_b32 s0, exec_lo
	v_cmpx_eq_u32_e32 0, v0
	s_cbranch_execz .LBB43_8
; %bb.7:
	s_lshl_b64 s[0:1], s[4:5], 2
	v_mov_b32_e32 v0, 0
	s_add_u32 s0, s2, s0
	s_addc_u32 s1, s3, s1
	global_store_b32 v0, v1, s[0:1]
.LBB43_8:
	s_nop 0
	s_sendmsg sendmsg(MSG_DEALLOC_VGPRS)
	s_endpgm
	.section	.rodata,"a",@progbits
	.p2align	6, 0x0
	.amdhsa_kernel _Z6kernelI6reduceILN6hipcub20BlockReduceAlgorithmE0EEfLj256ELj2ELj100EEvPKT0_PS4_
		.amdhsa_group_segment_fixed_size 32
		.amdhsa_private_segment_fixed_size 0
		.amdhsa_kernarg_size 272
		.amdhsa_user_sgpr_count 15
		.amdhsa_user_sgpr_dispatch_ptr 0
		.amdhsa_user_sgpr_queue_ptr 0
		.amdhsa_user_sgpr_kernarg_segment_ptr 1
		.amdhsa_user_sgpr_dispatch_id 0
		.amdhsa_user_sgpr_private_segment_size 0
		.amdhsa_wavefront_size32 1
		.amdhsa_uses_dynamic_stack 0
		.amdhsa_enable_private_segment 0
		.amdhsa_system_sgpr_workgroup_id_x 1
		.amdhsa_system_sgpr_workgroup_id_y 0
		.amdhsa_system_sgpr_workgroup_id_z 0
		.amdhsa_system_sgpr_workgroup_info 0
		.amdhsa_system_vgpr_workitem_id 0
		.amdhsa_next_free_vgpr 12
		.amdhsa_next_free_sgpr 16
		.amdhsa_reserve_vcc 1
		.amdhsa_float_round_mode_32 0
		.amdhsa_float_round_mode_16_64 0
		.amdhsa_float_denorm_mode_32 3
		.amdhsa_float_denorm_mode_16_64 3
		.amdhsa_dx10_clamp 1
		.amdhsa_ieee_mode 1
		.amdhsa_fp16_overflow 0
		.amdhsa_workgroup_processor_mode 1
		.amdhsa_memory_ordered 1
		.amdhsa_forward_progress 0
		.amdhsa_shared_vgpr_count 0
		.amdhsa_exception_fp_ieee_invalid_op 0
		.amdhsa_exception_fp_denorm_src 0
		.amdhsa_exception_fp_ieee_div_zero 0
		.amdhsa_exception_fp_ieee_overflow 0
		.amdhsa_exception_fp_ieee_underflow 0
		.amdhsa_exception_fp_ieee_inexact 0
		.amdhsa_exception_int_div_zero 0
	.end_amdhsa_kernel
	.section	.text._Z6kernelI6reduceILN6hipcub20BlockReduceAlgorithmE0EEfLj256ELj2ELj100EEvPKT0_PS4_,"axG",@progbits,_Z6kernelI6reduceILN6hipcub20BlockReduceAlgorithmE0EEfLj256ELj2ELj100EEvPKT0_PS4_,comdat
.Lfunc_end43:
	.size	_Z6kernelI6reduceILN6hipcub20BlockReduceAlgorithmE0EEfLj256ELj2ELj100EEvPKT0_PS4_, .Lfunc_end43-_Z6kernelI6reduceILN6hipcub20BlockReduceAlgorithmE0EEfLj256ELj2ELj100EEvPKT0_PS4_
                                        ; -- End function
	.section	.AMDGPU.csdata,"",@progbits
; Kernel info:
; codeLenInByte = 524
; NumSgprs: 18
; NumVgprs: 12
; ScratchSize: 0
; MemoryBound: 0
; FloatMode: 240
; IeeeMode: 1
; LDSByteSize: 32 bytes/workgroup (compile time only)
; SGPRBlocks: 2
; VGPRBlocks: 1
; NumSGPRsForWavesPerEU: 18
; NumVGPRsForWavesPerEU: 12
; Occupancy: 16
; WaveLimiterHint : 0
; COMPUTE_PGM_RSRC2:SCRATCH_EN: 0
; COMPUTE_PGM_RSRC2:USER_SGPR: 15
; COMPUTE_PGM_RSRC2:TRAP_HANDLER: 0
; COMPUTE_PGM_RSRC2:TGID_X_EN: 1
; COMPUTE_PGM_RSRC2:TGID_Y_EN: 0
; COMPUTE_PGM_RSRC2:TGID_Z_EN: 0
; COMPUTE_PGM_RSRC2:TIDIG_COMP_CNT: 0
	.section	.text._Z6kernelI6reduceILN6hipcub20BlockReduceAlgorithmE0EEfLj256ELj3ELj100EEvPKT0_PS4_,"axG",@progbits,_Z6kernelI6reduceILN6hipcub20BlockReduceAlgorithmE0EEfLj256ELj3ELj100EEvPKT0_PS4_,comdat
	.protected	_Z6kernelI6reduceILN6hipcub20BlockReduceAlgorithmE0EEfLj256ELj3ELj100EEvPKT0_PS4_ ; -- Begin function _Z6kernelI6reduceILN6hipcub20BlockReduceAlgorithmE0EEfLj256ELj3ELj100EEvPKT0_PS4_
	.globl	_Z6kernelI6reduceILN6hipcub20BlockReduceAlgorithmE0EEfLj256ELj3ELj100EEvPKT0_PS4_
	.p2align	8
	.type	_Z6kernelI6reduceILN6hipcub20BlockReduceAlgorithmE0EEfLj256ELj3ELj100EEvPKT0_PS4_,@function
_Z6kernelI6reduceILN6hipcub20BlockReduceAlgorithmE0EEfLj256ELj3ELj100EEvPKT0_PS4_: ; @_Z6kernelI6reduceILN6hipcub20BlockReduceAlgorithmE0EEfLj256ELj3ELj100EEvPKT0_PS4_
; %bb.0:
	s_load_b32 s2, s[0:1], 0x1c
	s_mov_b32 s4, s15
	v_mbcnt_lo_u32_b32 v9, -1, 0
	s_waitcnt lgkmcnt(0)
	s_and_b32 s2, s2, 0xffff
	s_delay_alu instid0(SALU_CYCLE_1) | instskip(SKIP_1) | instid1(VALU_DEP_1)
	v_mad_u64_u32 v[1:2], null, s4, s2, v[0:1]
	s_load_b128 s[0:3], s[0:1], 0x0
	v_lshl_add_u32 v1, v1, 1, v1
	s_delay_alu instid0(VALU_DEP_1) | instskip(NEXT) | instid1(VALU_DEP_1)
	v_dual_mov_b32 v2, 0 :: v_dual_add_nc_u32 v3, 1, v1
	v_mov_b32_e32 v4, v2
	v_lshlrev_b64 v[5:6], 2, v[1:2]
	v_add_nc_u32_e32 v1, 2, v1
	s_delay_alu instid0(VALU_DEP_3) | instskip(NEXT) | instid1(VALU_DEP_2)
	v_lshlrev_b64 v[3:4], 2, v[3:4]
	v_lshlrev_b64 v[1:2], 2, v[1:2]
	s_waitcnt lgkmcnt(0)
	s_delay_alu instid0(VALU_DEP_4) | instskip(SKIP_1) | instid1(VALU_DEP_4)
	v_add_co_u32 v5, vcc_lo, s0, v5
	v_add_co_ci_u32_e32 v6, vcc_lo, s1, v6, vcc_lo
	v_add_co_u32 v3, vcc_lo, s0, v3
	v_add_co_ci_u32_e32 v4, vcc_lo, s1, v4, vcc_lo
	;; [unrolled: 2-line block ×3, first 2 shown]
	s_clause 0x2
	global_load_b32 v1, v[5:6], off
	global_load_b32 v2, v[3:4], off
	;; [unrolled: 1-line block ×3, first 2 shown]
	v_and_b32_e32 v6, 7, v9
	v_lshrrev_b32_e32 v5, 3, v0
	v_cmp_eq_u32_e32 vcc_lo, 0, v9
	v_cmp_gt_u32_e64 s0, 32, v0
	s_delay_alu instid0(VALU_DEP_4) | instskip(NEXT) | instid1(VALU_DEP_4)
	v_cmp_gt_u32_e64 s1, 6, v6
	v_and_b32_e32 v5, 28, v5
	s_delay_alu instid0(VALU_DEP_2) | instskip(SKIP_1) | instid1(VALU_DEP_2)
	v_cndmask_b32_e64 v7, 0, 1, s1
	v_cmp_gt_u32_e64 s1, 4, v6
	v_dual_mov_b32 v4, 0x7c :: v_dual_lshlrev_b32 v11, 1, v7
	s_delay_alu instid0(VALU_DEP_2) | instskip(SKIP_2) | instid1(VALU_DEP_3)
	v_cndmask_b32_e64 v8, 0, 1, s1
	v_cmp_ne_u32_e64 s1, 7, v6
	v_lshlrev_b32_e32 v6, 2, v6
	v_lshlrev_b32_e32 v12, 2, v8
	s_delay_alu instid0(VALU_DEP_3) | instskip(SKIP_2) | instid1(VALU_DEP_3)
	v_add_co_ci_u32_e64 v10, s1, 0, v9, s1
	v_add_lshl_u32 v8, v11, v9, 2
	s_movk_i32 s1, 0x64
	v_add_lshl_u32 v9, v12, v9, 2
	s_delay_alu instid0(VALU_DEP_3)
	v_lshlrev_b32_e32 v7, 2, v10
	s_set_inst_prefetch_distance 0x1
	s_branch .LBB44_2
	.p2align	6
.LBB44_1:                               ;   in Loop: Header=BB44_2 Depth=1
	s_or_b32 exec_lo, exec_lo, s5
	s_add_i32 s1, s1, -1
	s_delay_alu instid0(SALU_CYCLE_1)
	s_cmp_eq_u32 s1, 0
	s_cbranch_scc1 .LBB44_6
.LBB44_2:                               ; =>This Inner Loop Header: Depth=1
	s_waitcnt vmcnt(1)
	v_add_f32_e32 v1, v1, v2
	s_waitcnt vmcnt(0)
	s_delay_alu instid0(VALU_DEP_1) | instskip(NEXT) | instid1(VALU_DEP_1)
	v_add_f32_e32 v1, v3, v1
	v_mov_b32_dpp v10, v1 quad_perm:[1,0,3,2] row_mask:0xf bank_mask:0xf
	s_delay_alu instid0(VALU_DEP_1) | instskip(NEXT) | instid1(VALU_DEP_1)
	v_add_f32_e32 v1, v1, v10
	v_mov_b32_dpp v10, v1 quad_perm:[2,3,0,1] row_mask:0xf bank_mask:0xf
	s_delay_alu instid0(VALU_DEP_1) | instskip(NEXT) | instid1(VALU_DEP_1)
	v_add_f32_e32 v1, v1, v10
	v_mov_b32_dpp v10, v1 row_ror:4 row_mask:0xf bank_mask:0xf
	s_delay_alu instid0(VALU_DEP_1) | instskip(NEXT) | instid1(VALU_DEP_1)
	v_add_f32_e32 v1, v1, v10
	v_mov_b32_dpp v10, v1 row_ror:8 row_mask:0xf bank_mask:0xf
	s_delay_alu instid0(VALU_DEP_1)
	v_add_f32_e32 v1, v1, v10
	ds_swizzle_b32 v10, v1 offset:swizzle(BROADCAST,32,15)
	s_waitcnt lgkmcnt(0)
	v_add_f32_e32 v1, v1, v10
	ds_bpermute_b32 v1, v4, v1
	s_and_saveexec_b32 s5, vcc_lo
	s_cbranch_execz .LBB44_4
; %bb.3:                                ;   in Loop: Header=BB44_2 Depth=1
	s_waitcnt lgkmcnt(0)
	ds_store_b32 v5, v1
.LBB44_4:                               ;   in Loop: Header=BB44_2 Depth=1
	s_or_b32 exec_lo, exec_lo, s5
	s_waitcnt lgkmcnt(0)
	s_barrier
	buffer_gl0_inv
	s_and_saveexec_b32 s5, s0
	s_cbranch_execz .LBB44_1
; %bb.5:                                ;   in Loop: Header=BB44_2 Depth=1
	ds_load_b32 v1, v6
	s_waitcnt lgkmcnt(0)
	ds_bpermute_b32 v10, v7, v1
	s_waitcnt lgkmcnt(0)
	v_add_f32_e32 v1, v1, v10
	ds_bpermute_b32 v10, v8, v1
	s_waitcnt lgkmcnt(0)
	v_add_f32_e32 v1, v1, v10
	;; [unrolled: 3-line block ×3, first 2 shown]
	s_branch .LBB44_1
.LBB44_6:
	s_set_inst_prefetch_distance 0x2
	s_mov_b32 s5, 0
	s_mov_b32 s0, exec_lo
	v_cmpx_eq_u32_e32 0, v0
	s_cbranch_execz .LBB44_8
; %bb.7:
	s_lshl_b64 s[0:1], s[4:5], 2
	v_mov_b32_e32 v0, 0
	s_add_u32 s0, s2, s0
	s_addc_u32 s1, s3, s1
	global_store_b32 v0, v1, s[0:1]
.LBB44_8:
	s_nop 0
	s_sendmsg sendmsg(MSG_DEALLOC_VGPRS)
	s_endpgm
	.section	.rodata,"a",@progbits
	.p2align	6, 0x0
	.amdhsa_kernel _Z6kernelI6reduceILN6hipcub20BlockReduceAlgorithmE0EEfLj256ELj3ELj100EEvPKT0_PS4_
		.amdhsa_group_segment_fixed_size 32
		.amdhsa_private_segment_fixed_size 0
		.amdhsa_kernarg_size 272
		.amdhsa_user_sgpr_count 15
		.amdhsa_user_sgpr_dispatch_ptr 0
		.amdhsa_user_sgpr_queue_ptr 0
		.amdhsa_user_sgpr_kernarg_segment_ptr 1
		.amdhsa_user_sgpr_dispatch_id 0
		.amdhsa_user_sgpr_private_segment_size 0
		.amdhsa_wavefront_size32 1
		.amdhsa_uses_dynamic_stack 0
		.amdhsa_enable_private_segment 0
		.amdhsa_system_sgpr_workgroup_id_x 1
		.amdhsa_system_sgpr_workgroup_id_y 0
		.amdhsa_system_sgpr_workgroup_id_z 0
		.amdhsa_system_sgpr_workgroup_info 0
		.amdhsa_system_vgpr_workitem_id 0
		.amdhsa_next_free_vgpr 13
		.amdhsa_next_free_sgpr 16
		.amdhsa_reserve_vcc 1
		.amdhsa_float_round_mode_32 0
		.amdhsa_float_round_mode_16_64 0
		.amdhsa_float_denorm_mode_32 3
		.amdhsa_float_denorm_mode_16_64 3
		.amdhsa_dx10_clamp 1
		.amdhsa_ieee_mode 1
		.amdhsa_fp16_overflow 0
		.amdhsa_workgroup_processor_mode 1
		.amdhsa_memory_ordered 1
		.amdhsa_forward_progress 0
		.amdhsa_shared_vgpr_count 0
		.amdhsa_exception_fp_ieee_invalid_op 0
		.amdhsa_exception_fp_denorm_src 0
		.amdhsa_exception_fp_ieee_div_zero 0
		.amdhsa_exception_fp_ieee_overflow 0
		.amdhsa_exception_fp_ieee_underflow 0
		.amdhsa_exception_fp_ieee_inexact 0
		.amdhsa_exception_int_div_zero 0
	.end_amdhsa_kernel
	.section	.text._Z6kernelI6reduceILN6hipcub20BlockReduceAlgorithmE0EEfLj256ELj3ELj100EEvPKT0_PS4_,"axG",@progbits,_Z6kernelI6reduceILN6hipcub20BlockReduceAlgorithmE0EEfLj256ELj3ELj100EEvPKT0_PS4_,comdat
.Lfunc_end44:
	.size	_Z6kernelI6reduceILN6hipcub20BlockReduceAlgorithmE0EEfLj256ELj3ELj100EEvPKT0_PS4_, .Lfunc_end44-_Z6kernelI6reduceILN6hipcub20BlockReduceAlgorithmE0EEfLj256ELj3ELj100EEvPKT0_PS4_
                                        ; -- End function
	.section	.AMDGPU.csdata,"",@progbits
; Kernel info:
; codeLenInByte = 620
; NumSgprs: 18
; NumVgprs: 13
; ScratchSize: 0
; MemoryBound: 0
; FloatMode: 240
; IeeeMode: 1
; LDSByteSize: 32 bytes/workgroup (compile time only)
; SGPRBlocks: 2
; VGPRBlocks: 1
; NumSGPRsForWavesPerEU: 18
; NumVGPRsForWavesPerEU: 13
; Occupancy: 16
; WaveLimiterHint : 0
; COMPUTE_PGM_RSRC2:SCRATCH_EN: 0
; COMPUTE_PGM_RSRC2:USER_SGPR: 15
; COMPUTE_PGM_RSRC2:TRAP_HANDLER: 0
; COMPUTE_PGM_RSRC2:TGID_X_EN: 1
; COMPUTE_PGM_RSRC2:TGID_Y_EN: 0
; COMPUTE_PGM_RSRC2:TGID_Z_EN: 0
; COMPUTE_PGM_RSRC2:TIDIG_COMP_CNT: 0
	.section	.text._Z6kernelI6reduceILN6hipcub20BlockReduceAlgorithmE0EEfLj256ELj4ELj100EEvPKT0_PS4_,"axG",@progbits,_Z6kernelI6reduceILN6hipcub20BlockReduceAlgorithmE0EEfLj256ELj4ELj100EEvPKT0_PS4_,comdat
	.protected	_Z6kernelI6reduceILN6hipcub20BlockReduceAlgorithmE0EEfLj256ELj4ELj100EEvPKT0_PS4_ ; -- Begin function _Z6kernelI6reduceILN6hipcub20BlockReduceAlgorithmE0EEfLj256ELj4ELj100EEvPKT0_PS4_
	.globl	_Z6kernelI6reduceILN6hipcub20BlockReduceAlgorithmE0EEfLj256ELj4ELj100EEvPKT0_PS4_
	.p2align	8
	.type	_Z6kernelI6reduceILN6hipcub20BlockReduceAlgorithmE0EEfLj256ELj4ELj100EEvPKT0_PS4_,@function
_Z6kernelI6reduceILN6hipcub20BlockReduceAlgorithmE0EEfLj256ELj4ELj100EEvPKT0_PS4_: ; @_Z6kernelI6reduceILN6hipcub20BlockReduceAlgorithmE0EEfLj256ELj4ELj100EEvPKT0_PS4_
; %bb.0:
	s_clause 0x1
	s_load_b32 s5, s[0:1], 0x1c
	s_load_b128 s[0:3], s[0:1], 0x0
	v_mbcnt_lo_u32_b32 v10, -1, 0
	v_mov_b32_e32 v2, 0
	v_lshrrev_b32_e32 v6, 3, v0
	s_mov_b32 s4, s15
	s_delay_alu instid0(VALU_DEP_3) | instskip(NEXT) | instid1(VALU_DEP_2)
	v_and_b32_e32 v7, 7, v10
	v_and_b32_e32 v6, 28, v6
	s_waitcnt lgkmcnt(0)
	s_and_b32 s5, s5, 0xffff
	s_delay_alu instid0(SALU_CYCLE_1) | instskip(NEXT) | instid1(SALU_CYCLE_1)
	s_mul_i32 s5, s15, s5
	v_add_lshl_u32 v1, s5, v0, 2
	s_delay_alu instid0(VALU_DEP_1) | instskip(NEXT) | instid1(VALU_DEP_1)
	v_lshlrev_b64 v[1:2], 2, v[1:2]
	v_add_co_u32 v1, vcc_lo, s0, v1
	s_delay_alu instid0(VALU_DEP_2)
	v_add_co_ci_u32_e32 v2, vcc_lo, s1, v2, vcc_lo
	v_cmp_gt_u32_e64 s1, 6, v7
	v_cmp_eq_u32_e32 vcc_lo, 0, v10
	v_cmp_gt_u32_e64 s0, 32, v0
	global_load_b128 v[1:4], v[1:2], off
	v_cndmask_b32_e64 v8, 0, 1, s1
	v_cmp_gt_u32_e64 s1, 4, v7
	s_delay_alu instid0(VALU_DEP_2) | instskip(NEXT) | instid1(VALU_DEP_2)
	v_dual_mov_b32 v5, 0x7c :: v_dual_lshlrev_b32 v12, 1, v8
	v_cndmask_b32_e64 v9, 0, 1, s1
	v_cmp_ne_u32_e64 s1, 7, v7
	v_lshlrev_b32_e32 v7, 2, v7
	s_delay_alu instid0(VALU_DEP_3) | instskip(NEXT) | instid1(VALU_DEP_3)
	v_lshlrev_b32_e32 v13, 2, v9
	v_add_co_ci_u32_e64 v11, s1, 0, v10, s1
	v_add_lshl_u32 v9, v12, v10, 2
	s_movk_i32 s1, 0x64
	s_delay_alu instid0(VALU_DEP_3) | instskip(NEXT) | instid1(VALU_DEP_3)
	v_add_lshl_u32 v10, v13, v10, 2
	v_lshlrev_b32_e32 v8, 2, v11
	s_set_inst_prefetch_distance 0x1
	s_branch .LBB45_2
	.p2align	6
.LBB45_1:                               ;   in Loop: Header=BB45_2 Depth=1
	s_or_b32 exec_lo, exec_lo, s5
	s_add_i32 s1, s1, -1
	s_delay_alu instid0(SALU_CYCLE_1)
	s_cmp_eq_u32 s1, 0
	s_cbranch_scc1 .LBB45_6
.LBB45_2:                               ; =>This Inner Loop Header: Depth=1
	s_waitcnt vmcnt(0)
	v_add_f32_e32 v1, v1, v2
	s_delay_alu instid0(VALU_DEP_1) | instskip(NEXT) | instid1(VALU_DEP_1)
	v_add_f32_e32 v1, v3, v1
	v_add_f32_e32 v1, v4, v1
	s_delay_alu instid0(VALU_DEP_1) | instskip(NEXT) | instid1(VALU_DEP_1)
	v_mov_b32_dpp v11, v1 quad_perm:[1,0,3,2] row_mask:0xf bank_mask:0xf
	v_add_f32_e32 v1, v1, v11
	s_delay_alu instid0(VALU_DEP_1) | instskip(NEXT) | instid1(VALU_DEP_1)
	v_mov_b32_dpp v11, v1 quad_perm:[2,3,0,1] row_mask:0xf bank_mask:0xf
	v_add_f32_e32 v1, v1, v11
	s_delay_alu instid0(VALU_DEP_1) | instskip(NEXT) | instid1(VALU_DEP_1)
	v_mov_b32_dpp v11, v1 row_ror:4 row_mask:0xf bank_mask:0xf
	v_add_f32_e32 v1, v1, v11
	s_delay_alu instid0(VALU_DEP_1) | instskip(NEXT) | instid1(VALU_DEP_1)
	v_mov_b32_dpp v11, v1 row_ror:8 row_mask:0xf bank_mask:0xf
	v_add_f32_e32 v1, v1, v11
	ds_swizzle_b32 v11, v1 offset:swizzle(BROADCAST,32,15)
	s_waitcnt lgkmcnt(0)
	v_add_f32_e32 v1, v1, v11
	ds_bpermute_b32 v1, v5, v1
	s_and_saveexec_b32 s5, vcc_lo
	s_cbranch_execz .LBB45_4
; %bb.3:                                ;   in Loop: Header=BB45_2 Depth=1
	s_waitcnt lgkmcnt(0)
	ds_store_b32 v6, v1
.LBB45_4:                               ;   in Loop: Header=BB45_2 Depth=1
	s_or_b32 exec_lo, exec_lo, s5
	s_waitcnt lgkmcnt(0)
	s_barrier
	buffer_gl0_inv
	s_and_saveexec_b32 s5, s0
	s_cbranch_execz .LBB45_1
; %bb.5:                                ;   in Loop: Header=BB45_2 Depth=1
	ds_load_b32 v1, v7
	s_waitcnt lgkmcnt(0)
	ds_bpermute_b32 v11, v8, v1
	s_waitcnt lgkmcnt(0)
	v_add_f32_e32 v1, v1, v11
	ds_bpermute_b32 v11, v9, v1
	s_waitcnt lgkmcnt(0)
	v_add_f32_e32 v1, v1, v11
	;; [unrolled: 3-line block ×3, first 2 shown]
	s_branch .LBB45_1
.LBB45_6:
	s_set_inst_prefetch_distance 0x2
	s_mov_b32 s5, 0
	s_mov_b32 s0, exec_lo
	v_cmpx_eq_u32_e32 0, v0
	s_cbranch_execz .LBB45_8
; %bb.7:
	s_lshl_b64 s[0:1], s[4:5], 2
	v_mov_b32_e32 v0, 0
	s_add_u32 s0, s2, s0
	s_addc_u32 s1, s3, s1
	global_store_b32 v0, v1, s[0:1]
.LBB45_8:
	s_nop 0
	s_sendmsg sendmsg(MSG_DEALLOC_VGPRS)
	s_endpgm
	.section	.rodata,"a",@progbits
	.p2align	6, 0x0
	.amdhsa_kernel _Z6kernelI6reduceILN6hipcub20BlockReduceAlgorithmE0EEfLj256ELj4ELj100EEvPKT0_PS4_
		.amdhsa_group_segment_fixed_size 32
		.amdhsa_private_segment_fixed_size 0
		.amdhsa_kernarg_size 272
		.amdhsa_user_sgpr_count 15
		.amdhsa_user_sgpr_dispatch_ptr 0
		.amdhsa_user_sgpr_queue_ptr 0
		.amdhsa_user_sgpr_kernarg_segment_ptr 1
		.amdhsa_user_sgpr_dispatch_id 0
		.amdhsa_user_sgpr_private_segment_size 0
		.amdhsa_wavefront_size32 1
		.amdhsa_uses_dynamic_stack 0
		.amdhsa_enable_private_segment 0
		.amdhsa_system_sgpr_workgroup_id_x 1
		.amdhsa_system_sgpr_workgroup_id_y 0
		.amdhsa_system_sgpr_workgroup_id_z 0
		.amdhsa_system_sgpr_workgroup_info 0
		.amdhsa_system_vgpr_workitem_id 0
		.amdhsa_next_free_vgpr 14
		.amdhsa_next_free_sgpr 16
		.amdhsa_reserve_vcc 1
		.amdhsa_float_round_mode_32 0
		.amdhsa_float_round_mode_16_64 0
		.amdhsa_float_denorm_mode_32 3
		.amdhsa_float_denorm_mode_16_64 3
		.amdhsa_dx10_clamp 1
		.amdhsa_ieee_mode 1
		.amdhsa_fp16_overflow 0
		.amdhsa_workgroup_processor_mode 1
		.amdhsa_memory_ordered 1
		.amdhsa_forward_progress 0
		.amdhsa_shared_vgpr_count 0
		.amdhsa_exception_fp_ieee_invalid_op 0
		.amdhsa_exception_fp_denorm_src 0
		.amdhsa_exception_fp_ieee_div_zero 0
		.amdhsa_exception_fp_ieee_overflow 0
		.amdhsa_exception_fp_ieee_underflow 0
		.amdhsa_exception_fp_ieee_inexact 0
		.amdhsa_exception_int_div_zero 0
	.end_amdhsa_kernel
	.section	.text._Z6kernelI6reduceILN6hipcub20BlockReduceAlgorithmE0EEfLj256ELj4ELj100EEvPKT0_PS4_,"axG",@progbits,_Z6kernelI6reduceILN6hipcub20BlockReduceAlgorithmE0EEfLj256ELj4ELj100EEvPKT0_PS4_,comdat
.Lfunc_end45:
	.size	_Z6kernelI6reduceILN6hipcub20BlockReduceAlgorithmE0EEfLj256ELj4ELj100EEvPKT0_PS4_, .Lfunc_end45-_Z6kernelI6reduceILN6hipcub20BlockReduceAlgorithmE0EEfLj256ELj4ELj100EEvPKT0_PS4_
                                        ; -- End function
	.section	.AMDGPU.csdata,"",@progbits
; Kernel info:
; codeLenInByte = 536
; NumSgprs: 18
; NumVgprs: 14
; ScratchSize: 0
; MemoryBound: 0
; FloatMode: 240
; IeeeMode: 1
; LDSByteSize: 32 bytes/workgroup (compile time only)
; SGPRBlocks: 2
; VGPRBlocks: 1
; NumSGPRsForWavesPerEU: 18
; NumVGPRsForWavesPerEU: 14
; Occupancy: 16
; WaveLimiterHint : 0
; COMPUTE_PGM_RSRC2:SCRATCH_EN: 0
; COMPUTE_PGM_RSRC2:USER_SGPR: 15
; COMPUTE_PGM_RSRC2:TRAP_HANDLER: 0
; COMPUTE_PGM_RSRC2:TGID_X_EN: 1
; COMPUTE_PGM_RSRC2:TGID_Y_EN: 0
; COMPUTE_PGM_RSRC2:TGID_Z_EN: 0
; COMPUTE_PGM_RSRC2:TIDIG_COMP_CNT: 0
	.section	.text._Z6kernelI6reduceILN6hipcub20BlockReduceAlgorithmE0EEfLj256ELj8ELj100EEvPKT0_PS4_,"axG",@progbits,_Z6kernelI6reduceILN6hipcub20BlockReduceAlgorithmE0EEfLj256ELj8ELj100EEvPKT0_PS4_,comdat
	.protected	_Z6kernelI6reduceILN6hipcub20BlockReduceAlgorithmE0EEfLj256ELj8ELj100EEvPKT0_PS4_ ; -- Begin function _Z6kernelI6reduceILN6hipcub20BlockReduceAlgorithmE0EEfLj256ELj8ELj100EEvPKT0_PS4_
	.globl	_Z6kernelI6reduceILN6hipcub20BlockReduceAlgorithmE0EEfLj256ELj8ELj100EEvPKT0_PS4_
	.p2align	8
	.type	_Z6kernelI6reduceILN6hipcub20BlockReduceAlgorithmE0EEfLj256ELj8ELj100EEvPKT0_PS4_,@function
_Z6kernelI6reduceILN6hipcub20BlockReduceAlgorithmE0EEfLj256ELj8ELj100EEvPKT0_PS4_: ; @_Z6kernelI6reduceILN6hipcub20BlockReduceAlgorithmE0EEfLj256ELj8ELj100EEvPKT0_PS4_
; %bb.0:
	s_clause 0x1
	s_load_b32 s5, s[0:1], 0x1c
	s_load_b128 s[0:3], s[0:1], 0x0
	v_mbcnt_lo_u32_b32 v14, -1, 0
	v_mov_b32_e32 v2, 0
	v_lshrrev_b32_e32 v10, 3, v0
	s_mov_b32 s4, s15
	s_delay_alu instid0(VALU_DEP_3) | instskip(NEXT) | instid1(VALU_DEP_2)
	v_and_b32_e32 v11, 7, v14
	v_and_b32_e32 v10, 28, v10
	s_waitcnt lgkmcnt(0)
	s_and_b32 s5, s5, 0xffff
	s_delay_alu instid0(SALU_CYCLE_1) | instskip(NEXT) | instid1(SALU_CYCLE_1)
	s_mul_i32 s5, s15, s5
	v_add_lshl_u32 v1, s5, v0, 3
	s_delay_alu instid0(VALU_DEP_1) | instskip(NEXT) | instid1(VALU_DEP_1)
	v_lshlrev_b64 v[1:2], 2, v[1:2]
	v_add_co_u32 v5, vcc_lo, s0, v1
	s_delay_alu instid0(VALU_DEP_2)
	v_add_co_ci_u32_e32 v6, vcc_lo, s1, v2, vcc_lo
	v_cmp_gt_u32_e64 s1, 6, v11
	v_cmp_eq_u32_e32 vcc_lo, 0, v14
	v_cmp_gt_u32_e64 s0, 32, v0
	s_clause 0x1
	global_load_b128 v[1:4], v[5:6], off
	global_load_b128 v[5:8], v[5:6], off offset:16
	v_cndmask_b32_e64 v12, 0, 1, s1
	v_cmp_gt_u32_e64 s1, 4, v11
	s_delay_alu instid0(VALU_DEP_2) | instskip(NEXT) | instid1(VALU_DEP_2)
	v_dual_mov_b32 v9, 0x7c :: v_dual_lshlrev_b32 v16, 1, v12
	v_cndmask_b32_e64 v13, 0, 1, s1
	v_cmp_ne_u32_e64 s1, 7, v11
	v_lshlrev_b32_e32 v11, 2, v11
	s_delay_alu instid0(VALU_DEP_3) | instskip(NEXT) | instid1(VALU_DEP_3)
	v_lshlrev_b32_e32 v17, 2, v13
	v_add_co_ci_u32_e64 v15, s1, 0, v14, s1
	v_add_lshl_u32 v13, v16, v14, 2
	s_movk_i32 s1, 0x64
	s_delay_alu instid0(VALU_DEP_3) | instskip(NEXT) | instid1(VALU_DEP_3)
	v_add_lshl_u32 v14, v17, v14, 2
	v_lshlrev_b32_e32 v12, 2, v15
	s_set_inst_prefetch_distance 0x1
	s_branch .LBB46_2
	.p2align	6
.LBB46_1:                               ;   in Loop: Header=BB46_2 Depth=1
	s_or_b32 exec_lo, exec_lo, s5
	s_add_i32 s1, s1, -1
	s_delay_alu instid0(SALU_CYCLE_1)
	s_cmp_eq_u32 s1, 0
	s_cbranch_scc1 .LBB46_6
.LBB46_2:                               ; =>This Inner Loop Header: Depth=1
	s_waitcnt vmcnt(1)
	v_add_f32_e32 v1, v1, v2
	s_delay_alu instid0(VALU_DEP_1) | instskip(NEXT) | instid1(VALU_DEP_1)
	v_add_f32_e32 v1, v3, v1
	v_add_f32_e32 v1, v4, v1
	s_waitcnt vmcnt(0)
	s_delay_alu instid0(VALU_DEP_1) | instskip(NEXT) | instid1(VALU_DEP_1)
	v_add_f32_e32 v1, v5, v1
	v_add_f32_e32 v1, v6, v1
	s_delay_alu instid0(VALU_DEP_1) | instskip(NEXT) | instid1(VALU_DEP_1)
	v_add_f32_e32 v1, v7, v1
	v_add_f32_e32 v1, v8, v1
	s_delay_alu instid0(VALU_DEP_1) | instskip(NEXT) | instid1(VALU_DEP_1)
	v_mov_b32_dpp v15, v1 quad_perm:[1,0,3,2] row_mask:0xf bank_mask:0xf
	v_add_f32_e32 v1, v1, v15
	s_delay_alu instid0(VALU_DEP_1) | instskip(NEXT) | instid1(VALU_DEP_1)
	v_mov_b32_dpp v15, v1 quad_perm:[2,3,0,1] row_mask:0xf bank_mask:0xf
	v_add_f32_e32 v1, v1, v15
	s_delay_alu instid0(VALU_DEP_1) | instskip(NEXT) | instid1(VALU_DEP_1)
	v_mov_b32_dpp v15, v1 row_ror:4 row_mask:0xf bank_mask:0xf
	v_add_f32_e32 v1, v1, v15
	s_delay_alu instid0(VALU_DEP_1) | instskip(NEXT) | instid1(VALU_DEP_1)
	v_mov_b32_dpp v15, v1 row_ror:8 row_mask:0xf bank_mask:0xf
	v_add_f32_e32 v1, v1, v15
	ds_swizzle_b32 v15, v1 offset:swizzle(BROADCAST,32,15)
	s_waitcnt lgkmcnt(0)
	v_add_f32_e32 v1, v1, v15
	ds_bpermute_b32 v1, v9, v1
	s_and_saveexec_b32 s5, vcc_lo
	s_cbranch_execz .LBB46_4
; %bb.3:                                ;   in Loop: Header=BB46_2 Depth=1
	s_waitcnt lgkmcnt(0)
	ds_store_b32 v10, v1
.LBB46_4:                               ;   in Loop: Header=BB46_2 Depth=1
	s_or_b32 exec_lo, exec_lo, s5
	s_waitcnt lgkmcnt(0)
	s_barrier
	buffer_gl0_inv
	s_and_saveexec_b32 s5, s0
	s_cbranch_execz .LBB46_1
; %bb.5:                                ;   in Loop: Header=BB46_2 Depth=1
	ds_load_b32 v1, v11
	s_waitcnt lgkmcnt(0)
	ds_bpermute_b32 v15, v12, v1
	s_waitcnt lgkmcnt(0)
	v_add_f32_e32 v1, v1, v15
	ds_bpermute_b32 v15, v13, v1
	s_waitcnt lgkmcnt(0)
	v_add_f32_e32 v1, v1, v15
	;; [unrolled: 3-line block ×3, first 2 shown]
	s_branch .LBB46_1
.LBB46_6:
	s_set_inst_prefetch_distance 0x2
	s_mov_b32 s5, 0
	s_mov_b32 s0, exec_lo
	v_cmpx_eq_u32_e32 0, v0
	s_cbranch_execz .LBB46_8
; %bb.7:
	s_lshl_b64 s[0:1], s[4:5], 2
	v_mov_b32_e32 v0, 0
	s_add_u32 s0, s2, s0
	s_addc_u32 s1, s3, s1
	global_store_b32 v0, v1, s[0:1]
.LBB46_8:
	s_nop 0
	s_sendmsg sendmsg(MSG_DEALLOC_VGPRS)
	s_endpgm
	.section	.rodata,"a",@progbits
	.p2align	6, 0x0
	.amdhsa_kernel _Z6kernelI6reduceILN6hipcub20BlockReduceAlgorithmE0EEfLj256ELj8ELj100EEvPKT0_PS4_
		.amdhsa_group_segment_fixed_size 32
		.amdhsa_private_segment_fixed_size 0
		.amdhsa_kernarg_size 272
		.amdhsa_user_sgpr_count 15
		.amdhsa_user_sgpr_dispatch_ptr 0
		.amdhsa_user_sgpr_queue_ptr 0
		.amdhsa_user_sgpr_kernarg_segment_ptr 1
		.amdhsa_user_sgpr_dispatch_id 0
		.amdhsa_user_sgpr_private_segment_size 0
		.amdhsa_wavefront_size32 1
		.amdhsa_uses_dynamic_stack 0
		.amdhsa_enable_private_segment 0
		.amdhsa_system_sgpr_workgroup_id_x 1
		.amdhsa_system_sgpr_workgroup_id_y 0
		.amdhsa_system_sgpr_workgroup_id_z 0
		.amdhsa_system_sgpr_workgroup_info 0
		.amdhsa_system_vgpr_workitem_id 0
		.amdhsa_next_free_vgpr 18
		.amdhsa_next_free_sgpr 16
		.amdhsa_reserve_vcc 1
		.amdhsa_float_round_mode_32 0
		.amdhsa_float_round_mode_16_64 0
		.amdhsa_float_denorm_mode_32 3
		.amdhsa_float_denorm_mode_16_64 3
		.amdhsa_dx10_clamp 1
		.amdhsa_ieee_mode 1
		.amdhsa_fp16_overflow 0
		.amdhsa_workgroup_processor_mode 1
		.amdhsa_memory_ordered 1
		.amdhsa_forward_progress 0
		.amdhsa_shared_vgpr_count 0
		.amdhsa_exception_fp_ieee_invalid_op 0
		.amdhsa_exception_fp_denorm_src 0
		.amdhsa_exception_fp_ieee_div_zero 0
		.amdhsa_exception_fp_ieee_overflow 0
		.amdhsa_exception_fp_ieee_underflow 0
		.amdhsa_exception_fp_ieee_inexact 0
		.amdhsa_exception_int_div_zero 0
	.end_amdhsa_kernel
	.section	.text._Z6kernelI6reduceILN6hipcub20BlockReduceAlgorithmE0EEfLj256ELj8ELj100EEvPKT0_PS4_,"axG",@progbits,_Z6kernelI6reduceILN6hipcub20BlockReduceAlgorithmE0EEfLj256ELj8ELj100EEvPKT0_PS4_,comdat
.Lfunc_end46:
	.size	_Z6kernelI6reduceILN6hipcub20BlockReduceAlgorithmE0EEfLj256ELj8ELj100EEvPKT0_PS4_, .Lfunc_end46-_Z6kernelI6reduceILN6hipcub20BlockReduceAlgorithmE0EEfLj256ELj8ELj100EEvPKT0_PS4_
                                        ; -- End function
	.section	.AMDGPU.csdata,"",@progbits
; Kernel info:
; codeLenInByte = 576
; NumSgprs: 18
; NumVgprs: 18
; ScratchSize: 0
; MemoryBound: 0
; FloatMode: 240
; IeeeMode: 1
; LDSByteSize: 32 bytes/workgroup (compile time only)
; SGPRBlocks: 2
; VGPRBlocks: 2
; NumSGPRsForWavesPerEU: 18
; NumVGPRsForWavesPerEU: 18
; Occupancy: 16
; WaveLimiterHint : 0
; COMPUTE_PGM_RSRC2:SCRATCH_EN: 0
; COMPUTE_PGM_RSRC2:USER_SGPR: 15
; COMPUTE_PGM_RSRC2:TRAP_HANDLER: 0
; COMPUTE_PGM_RSRC2:TGID_X_EN: 1
; COMPUTE_PGM_RSRC2:TGID_Y_EN: 0
; COMPUTE_PGM_RSRC2:TGID_Z_EN: 0
; COMPUTE_PGM_RSRC2:TIDIG_COMP_CNT: 0
	.section	.text._Z6kernelI6reduceILN6hipcub20BlockReduceAlgorithmE0EEfLj256ELj11ELj100EEvPKT0_PS4_,"axG",@progbits,_Z6kernelI6reduceILN6hipcub20BlockReduceAlgorithmE0EEfLj256ELj11ELj100EEvPKT0_PS4_,comdat
	.protected	_Z6kernelI6reduceILN6hipcub20BlockReduceAlgorithmE0EEfLj256ELj11ELj100EEvPKT0_PS4_ ; -- Begin function _Z6kernelI6reduceILN6hipcub20BlockReduceAlgorithmE0EEfLj256ELj11ELj100EEvPKT0_PS4_
	.globl	_Z6kernelI6reduceILN6hipcub20BlockReduceAlgorithmE0EEfLj256ELj11ELj100EEvPKT0_PS4_
	.p2align	8
	.type	_Z6kernelI6reduceILN6hipcub20BlockReduceAlgorithmE0EEfLj256ELj11ELj100EEvPKT0_PS4_,@function
_Z6kernelI6reduceILN6hipcub20BlockReduceAlgorithmE0EEfLj256ELj11ELj100EEvPKT0_PS4_: ; @_Z6kernelI6reduceILN6hipcub20BlockReduceAlgorithmE0EEfLj256ELj11ELj100EEvPKT0_PS4_
; %bb.0:
	s_load_b32 s2, s[0:1], 0x1c
	s_mov_b32 s4, s15
	s_waitcnt lgkmcnt(0)
	s_and_b32 s2, s2, 0xffff
	s_delay_alu instid0(SALU_CYCLE_1) | instskip(SKIP_1) | instid1(VALU_DEP_1)
	v_mad_u64_u32 v[1:2], null, s4, s2, v[0:1]
	s_load_b128 s[0:3], s[0:1], 0x0
	v_mul_lo_u32 v1, v1, 11
	s_delay_alu instid0(VALU_DEP_1) | instskip(NEXT) | instid1(VALU_DEP_1)
	v_dual_mov_b32 v2, 0 :: v_dual_add_nc_u32 v3, 1, v1
	v_dual_mov_b32 v4, v2 :: v_dual_add_nc_u32 v5, 2, v1
	v_lshlrev_b64 v[17:18], 2, v[1:2]
	v_dual_mov_b32 v6, v2 :: v_dual_add_nc_u32 v7, 3, v1
	s_delay_alu instid0(VALU_DEP_3) | instskip(SKIP_1) | instid1(VALU_DEP_3)
	v_lshlrev_b64 v[3:4], 2, v[3:4]
	v_dual_mov_b32 v8, v2 :: v_dual_add_nc_u32 v9, 4, v1
	v_lshlrev_b64 v[5:6], 2, v[5:6]
	s_waitcnt lgkmcnt(0)
	v_add_co_u32 v17, vcc_lo, s0, v17
	v_dual_mov_b32 v10, v2 :: v_dual_add_nc_u32 v11, 5, v1
	v_add_co_ci_u32_e32 v18, vcc_lo, s1, v18, vcc_lo
	v_lshlrev_b64 v[7:8], 2, v[7:8]
	v_add_co_u32 v3, vcc_lo, s0, v3
	v_dual_mov_b32 v12, v2 :: v_dual_add_nc_u32 v13, 6, v1
	v_add_co_ci_u32_e32 v4, vcc_lo, s1, v4, vcc_lo
	v_lshlrev_b64 v[9:10], 2, v[9:10]
	v_add_co_u32 v5, vcc_lo, s0, v5
	v_dual_mov_b32 v14, v2 :: v_dual_add_nc_u32 v15, 7, v1
	v_add_co_ci_u32_e32 v6, vcc_lo, s1, v6, vcc_lo
	v_lshlrev_b64 v[11:12], 2, v[11:12]
	v_add_co_u32 v19, vcc_lo, s0, v7
	v_mov_b32_e32 v16, v2
	v_add_co_ci_u32_e32 v20, vcc_lo, s1, v8, vcc_lo
	v_lshlrev_b64 v[13:14], 2, v[13:14]
	v_add_co_u32 v9, vcc_lo, s0, v9
	v_add_co_ci_u32_e32 v10, vcc_lo, s1, v10, vcc_lo
	v_add_co_u32 v11, vcc_lo, s0, v11
	v_lshlrev_b64 v[7:8], 2, v[15:16]
	v_add_nc_u32_e32 v15, 8, v1
	v_add_co_ci_u32_e32 v12, vcc_lo, s1, v12, vcc_lo
	v_add_co_u32 v13, vcc_lo, s0, v13
	v_dual_mov_b32 v22, v2 :: v_dual_add_nc_u32 v21, 9, v1
	v_add_co_ci_u32_e32 v14, vcc_lo, s1, v14, vcc_lo
	v_lshlrev_b64 v[15:16], 2, v[15:16]
	v_add_co_u32 v23, vcc_lo, s0, v7
	v_add_nc_u32_e32 v1, 10, v1
	v_add_co_ci_u32_e32 v24, vcc_lo, s1, v8, vcc_lo
	v_lshlrev_b64 v[7:8], 2, v[21:22]
	v_add_co_u32 v15, vcc_lo, s0, v15
	s_delay_alu instid0(VALU_DEP_4) | instskip(SKIP_1) | instid1(VALU_DEP_4)
	v_lshlrev_b64 v[1:2], 2, v[1:2]
	v_add_co_ci_u32_e32 v16, vcc_lo, s1, v16, vcc_lo
	v_add_co_u32 v21, vcc_lo, s0, v7
	v_add_co_ci_u32_e32 v22, vcc_lo, s1, v8, vcc_lo
	s_delay_alu instid0(VALU_DEP_4)
	v_add_co_u32 v25, vcc_lo, s0, v1
	v_add_co_ci_u32_e32 v26, vcc_lo, s1, v2, vcc_lo
	s_clause 0xa
	global_load_b32 v8, v[17:18], off
	global_load_b32 v1, v[3:4], off
	;; [unrolled: 1-line block ×11, first 2 shown]
	v_mov_b32_e32 v12, 0x7c
	v_mbcnt_lo_u32_b32 v17, -1, 0
	v_lshrrev_b32_e32 v13, 3, v0
	v_cmp_gt_u32_e64 s0, 32, v0
	s_delay_alu instid0(VALU_DEP_3) | instskip(SKIP_1) | instid1(VALU_DEP_4)
	v_and_b32_e32 v14, 7, v17
	v_cmp_eq_u32_e32 vcc_lo, 0, v17
	v_and_b32_e32 v13, 28, v13
	s_delay_alu instid0(VALU_DEP_3) | instskip(NEXT) | instid1(VALU_DEP_1)
	v_cmp_gt_u32_e64 s1, 6, v14
	v_cndmask_b32_e64 v15, 0, 1, s1
	v_cmp_gt_u32_e64 s1, 4, v14
	s_delay_alu instid0(VALU_DEP_2) | instskip(NEXT) | instid1(VALU_DEP_2)
	v_lshlrev_b32_e32 v19, 1, v15
	v_cndmask_b32_e64 v16, 0, 1, s1
	v_cmp_ne_u32_e64 s1, 7, v14
	v_lshlrev_b32_e32 v14, 2, v14
	s_delay_alu instid0(VALU_DEP_3) | instskip(NEXT) | instid1(VALU_DEP_3)
	v_lshlrev_b32_e32 v20, 2, v16
	v_add_co_ci_u32_e64 v18, s1, 0, v17, s1
	v_add_lshl_u32 v16, v19, v17, 2
	s_movk_i32 s1, 0x64
	s_delay_alu instid0(VALU_DEP_3) | instskip(NEXT) | instid1(VALU_DEP_3)
	v_add_lshl_u32 v17, v20, v17, 2
	v_lshlrev_b32_e32 v15, 2, v18
	s_branch .LBB47_2
.LBB47_1:                               ;   in Loop: Header=BB47_2 Depth=1
	s_or_b32 exec_lo, exec_lo, s5
	s_add_i32 s1, s1, -1
	s_delay_alu instid0(SALU_CYCLE_1)
	s_cmp_eq_u32 s1, 0
	s_cbranch_scc1 .LBB47_6
.LBB47_2:                               ; =>This Inner Loop Header: Depth=1
	s_waitcnt vmcnt(9)
	v_add_f32_e32 v8, v1, v8
	s_waitcnt vmcnt(8)
	s_delay_alu instid0(VALU_DEP_1) | instskip(SKIP_1) | instid1(VALU_DEP_1)
	v_add_f32_e32 v8, v2, v8
	s_waitcnt vmcnt(7)
	v_add_f32_e32 v8, v3, v8
	s_waitcnt vmcnt(6)
	s_delay_alu instid0(VALU_DEP_1) | instskip(SKIP_1) | instid1(VALU_DEP_1)
	v_add_f32_e32 v8, v4, v8
	;; [unrolled: 5-line block ×4, first 2 shown]
	s_waitcnt vmcnt(1)
	v_add_f32_e32 v8, v10, v8
	s_waitcnt vmcnt(0)
	s_delay_alu instid0(VALU_DEP_1) | instskip(NEXT) | instid1(VALU_DEP_1)
	v_add_f32_e32 v8, v11, v8
	v_mov_b32_dpp v18, v8 quad_perm:[1,0,3,2] row_mask:0xf bank_mask:0xf
	s_delay_alu instid0(VALU_DEP_1) | instskip(NEXT) | instid1(VALU_DEP_1)
	v_add_f32_e32 v8, v8, v18
	v_mov_b32_dpp v18, v8 quad_perm:[2,3,0,1] row_mask:0xf bank_mask:0xf
	s_delay_alu instid0(VALU_DEP_1) | instskip(NEXT) | instid1(VALU_DEP_1)
	v_add_f32_e32 v8, v8, v18
	v_mov_b32_dpp v18, v8 row_ror:4 row_mask:0xf bank_mask:0xf
	s_delay_alu instid0(VALU_DEP_1) | instskip(NEXT) | instid1(VALU_DEP_1)
	v_add_f32_e32 v8, v8, v18
	v_mov_b32_dpp v18, v8 row_ror:8 row_mask:0xf bank_mask:0xf
	s_delay_alu instid0(VALU_DEP_1)
	v_add_f32_e32 v8, v8, v18
	ds_swizzle_b32 v18, v8 offset:swizzle(BROADCAST,32,15)
	s_waitcnt lgkmcnt(0)
	v_add_f32_e32 v8, v8, v18
	ds_bpermute_b32 v8, v12, v8
	s_and_saveexec_b32 s5, vcc_lo
	s_cbranch_execz .LBB47_4
; %bb.3:                                ;   in Loop: Header=BB47_2 Depth=1
	s_waitcnt lgkmcnt(0)
	ds_store_b32 v13, v8
.LBB47_4:                               ;   in Loop: Header=BB47_2 Depth=1
	s_or_b32 exec_lo, exec_lo, s5
	s_waitcnt lgkmcnt(0)
	s_barrier
	buffer_gl0_inv
	s_and_saveexec_b32 s5, s0
	s_cbranch_execz .LBB47_1
; %bb.5:                                ;   in Loop: Header=BB47_2 Depth=1
	ds_load_b32 v8, v14
	s_waitcnt lgkmcnt(0)
	ds_bpermute_b32 v18, v15, v8
	s_waitcnt lgkmcnt(0)
	v_add_f32_e32 v8, v8, v18
	ds_bpermute_b32 v18, v16, v8
	s_waitcnt lgkmcnt(0)
	v_add_f32_e32 v8, v8, v18
	ds_bpermute_b32 v18, v17, v8
	s_waitcnt lgkmcnt(0)
	v_add_f32_e32 v8, v8, v18
	s_branch .LBB47_1
.LBB47_6:
	s_mov_b32 s5, 0
	s_mov_b32 s0, exec_lo
	v_cmpx_eq_u32_e32 0, v0
	s_cbranch_execz .LBB47_8
; %bb.7:
	s_lshl_b64 s[0:1], s[4:5], 2
	v_mov_b32_e32 v0, 0
	s_add_u32 s0, s2, s0
	s_addc_u32 s1, s3, s1
	global_store_b32 v0, v8, s[0:1]
.LBB47_8:
	s_nop 0
	s_sendmsg sendmsg(MSG_DEALLOC_VGPRS)
	s_endpgm
	.section	.rodata,"a",@progbits
	.p2align	6, 0x0
	.amdhsa_kernel _Z6kernelI6reduceILN6hipcub20BlockReduceAlgorithmE0EEfLj256ELj11ELj100EEvPKT0_PS4_
		.amdhsa_group_segment_fixed_size 32
		.amdhsa_private_segment_fixed_size 0
		.amdhsa_kernarg_size 272
		.amdhsa_user_sgpr_count 15
		.amdhsa_user_sgpr_dispatch_ptr 0
		.amdhsa_user_sgpr_queue_ptr 0
		.amdhsa_user_sgpr_kernarg_segment_ptr 1
		.amdhsa_user_sgpr_dispatch_id 0
		.amdhsa_user_sgpr_private_segment_size 0
		.amdhsa_wavefront_size32 1
		.amdhsa_uses_dynamic_stack 0
		.amdhsa_enable_private_segment 0
		.amdhsa_system_sgpr_workgroup_id_x 1
		.amdhsa_system_sgpr_workgroup_id_y 0
		.amdhsa_system_sgpr_workgroup_id_z 0
		.amdhsa_system_sgpr_workgroup_info 0
		.amdhsa_system_vgpr_workitem_id 0
		.amdhsa_next_free_vgpr 27
		.amdhsa_next_free_sgpr 16
		.amdhsa_reserve_vcc 1
		.amdhsa_float_round_mode_32 0
		.amdhsa_float_round_mode_16_64 0
		.amdhsa_float_denorm_mode_32 3
		.amdhsa_float_denorm_mode_16_64 3
		.amdhsa_dx10_clamp 1
		.amdhsa_ieee_mode 1
		.amdhsa_fp16_overflow 0
		.amdhsa_workgroup_processor_mode 1
		.amdhsa_memory_ordered 1
		.amdhsa_forward_progress 0
		.amdhsa_shared_vgpr_count 0
		.amdhsa_exception_fp_ieee_invalid_op 0
		.amdhsa_exception_fp_denorm_src 0
		.amdhsa_exception_fp_ieee_div_zero 0
		.amdhsa_exception_fp_ieee_overflow 0
		.amdhsa_exception_fp_ieee_underflow 0
		.amdhsa_exception_fp_ieee_inexact 0
		.amdhsa_exception_int_div_zero 0
	.end_amdhsa_kernel
	.section	.text._Z6kernelI6reduceILN6hipcub20BlockReduceAlgorithmE0EEfLj256ELj11ELj100EEvPKT0_PS4_,"axG",@progbits,_Z6kernelI6reduceILN6hipcub20BlockReduceAlgorithmE0EEfLj256ELj11ELj100EEvPKT0_PS4_,comdat
.Lfunc_end47:
	.size	_Z6kernelI6reduceILN6hipcub20BlockReduceAlgorithmE0EEfLj256ELj11ELj100EEvPKT0_PS4_, .Lfunc_end47-_Z6kernelI6reduceILN6hipcub20BlockReduceAlgorithmE0EEfLj256ELj11ELj100EEvPKT0_PS4_
                                        ; -- End function
	.section	.AMDGPU.csdata,"",@progbits
; Kernel info:
; codeLenInByte = 980
; NumSgprs: 18
; NumVgprs: 27
; ScratchSize: 0
; MemoryBound: 0
; FloatMode: 240
; IeeeMode: 1
; LDSByteSize: 32 bytes/workgroup (compile time only)
; SGPRBlocks: 2
; VGPRBlocks: 3
; NumSGPRsForWavesPerEU: 18
; NumVGPRsForWavesPerEU: 27
; Occupancy: 16
; WaveLimiterHint : 0
; COMPUTE_PGM_RSRC2:SCRATCH_EN: 0
; COMPUTE_PGM_RSRC2:USER_SGPR: 15
; COMPUTE_PGM_RSRC2:TRAP_HANDLER: 0
; COMPUTE_PGM_RSRC2:TGID_X_EN: 1
; COMPUTE_PGM_RSRC2:TGID_Y_EN: 0
; COMPUTE_PGM_RSRC2:TGID_Z_EN: 0
; COMPUTE_PGM_RSRC2:TIDIG_COMP_CNT: 0
	.section	.text._Z6kernelI6reduceILN6hipcub20BlockReduceAlgorithmE0EEfLj256ELj16ELj100EEvPKT0_PS4_,"axG",@progbits,_Z6kernelI6reduceILN6hipcub20BlockReduceAlgorithmE0EEfLj256ELj16ELj100EEvPKT0_PS4_,comdat
	.protected	_Z6kernelI6reduceILN6hipcub20BlockReduceAlgorithmE0EEfLj256ELj16ELj100EEvPKT0_PS4_ ; -- Begin function _Z6kernelI6reduceILN6hipcub20BlockReduceAlgorithmE0EEfLj256ELj16ELj100EEvPKT0_PS4_
	.globl	_Z6kernelI6reduceILN6hipcub20BlockReduceAlgorithmE0EEfLj256ELj16ELj100EEvPKT0_PS4_
	.p2align	8
	.type	_Z6kernelI6reduceILN6hipcub20BlockReduceAlgorithmE0EEfLj256ELj16ELj100EEvPKT0_PS4_,@function
_Z6kernelI6reduceILN6hipcub20BlockReduceAlgorithmE0EEfLj256ELj16ELj100EEvPKT0_PS4_: ; @_Z6kernelI6reduceILN6hipcub20BlockReduceAlgorithmE0EEfLj256ELj16ELj100EEvPKT0_PS4_
; %bb.0:
	s_clause 0x1
	s_load_b32 s5, s[0:1], 0x1c
	s_load_b128 s[0:3], s[0:1], 0x0
	v_mbcnt_lo_u32_b32 v22, -1, 0
	v_mov_b32_e32 v2, 0
	v_lshrrev_b32_e32 v18, 3, v0
	s_mov_b32 s4, s15
	s_delay_alu instid0(VALU_DEP_3) | instskip(NEXT) | instid1(VALU_DEP_2)
	v_and_b32_e32 v19, 7, v22
	v_and_b32_e32 v18, 28, v18
	s_waitcnt lgkmcnt(0)
	s_and_b32 s5, s5, 0xffff
	s_delay_alu instid0(SALU_CYCLE_1) | instskip(NEXT) | instid1(SALU_CYCLE_1)
	s_mul_i32 s5, s15, s5
	v_add_lshl_u32 v1, s5, v0, 4
	s_delay_alu instid0(VALU_DEP_1) | instskip(NEXT) | instid1(VALU_DEP_1)
	v_lshlrev_b64 v[1:2], 2, v[1:2]
	v_add_co_u32 v13, vcc_lo, s0, v1
	s_delay_alu instid0(VALU_DEP_2)
	v_add_co_ci_u32_e32 v14, vcc_lo, s1, v2, vcc_lo
	v_cmp_gt_u32_e64 s1, 6, v19
	v_cmp_eq_u32_e32 vcc_lo, 0, v22
	v_cmp_gt_u32_e64 s0, 32, v0
	s_clause 0x3
	global_load_b128 v[1:4], v[13:14], off
	global_load_b128 v[5:8], v[13:14], off offset:16
	global_load_b128 v[9:12], v[13:14], off offset:32
	;; [unrolled: 1-line block ×3, first 2 shown]
	v_cndmask_b32_e64 v20, 0, 1, s1
	v_cmp_gt_u32_e64 s1, 4, v19
	s_delay_alu instid0(VALU_DEP_2) | instskip(NEXT) | instid1(VALU_DEP_2)
	v_dual_mov_b32 v17, 0x7c :: v_dual_lshlrev_b32 v24, 1, v20
	v_cndmask_b32_e64 v21, 0, 1, s1
	v_cmp_ne_u32_e64 s1, 7, v19
	v_lshlrev_b32_e32 v19, 2, v19
	s_delay_alu instid0(VALU_DEP_3) | instskip(NEXT) | instid1(VALU_DEP_3)
	v_lshlrev_b32_e32 v25, 2, v21
	v_add_co_ci_u32_e64 v23, s1, 0, v22, s1
	v_add_lshl_u32 v21, v24, v22, 2
	s_movk_i32 s1, 0x64
	s_delay_alu instid0(VALU_DEP_3) | instskip(NEXT) | instid1(VALU_DEP_3)
	v_add_lshl_u32 v22, v25, v22, 2
	v_lshlrev_b32_e32 v20, 2, v23
	s_branch .LBB48_2
.LBB48_1:                               ;   in Loop: Header=BB48_2 Depth=1
	s_or_b32 exec_lo, exec_lo, s5
	s_add_i32 s1, s1, -1
	s_delay_alu instid0(SALU_CYCLE_1)
	s_cmp_eq_u32 s1, 0
	s_cbranch_scc1 .LBB48_6
.LBB48_2:                               ; =>This Inner Loop Header: Depth=1
	s_waitcnt vmcnt(3)
	v_add_f32_e32 v1, v2, v1
	s_delay_alu instid0(VALU_DEP_1) | instskip(NEXT) | instid1(VALU_DEP_1)
	v_add_f32_e32 v1, v3, v1
	v_add_f32_e32 v1, v4, v1
	s_waitcnt vmcnt(2)
	s_delay_alu instid0(VALU_DEP_1) | instskip(NEXT) | instid1(VALU_DEP_1)
	v_add_f32_e32 v1, v5, v1
	v_add_f32_e32 v1, v6, v1
	s_delay_alu instid0(VALU_DEP_1) | instskip(NEXT) | instid1(VALU_DEP_1)
	v_add_f32_e32 v1, v7, v1
	v_add_f32_e32 v1, v8, v1
	s_waitcnt vmcnt(1)
	s_delay_alu instid0(VALU_DEP_1) | instskip(NEXT) | instid1(VALU_DEP_1)
	v_add_f32_e32 v1, v9, v1
	;; [unrolled: 7-line block ×3, first 2 shown]
	v_add_f32_e32 v1, v14, v1
	s_delay_alu instid0(VALU_DEP_1) | instskip(NEXT) | instid1(VALU_DEP_1)
	v_add_f32_e32 v1, v15, v1
	v_add_f32_e32 v1, v16, v1
	s_delay_alu instid0(VALU_DEP_1) | instskip(NEXT) | instid1(VALU_DEP_1)
	v_mov_b32_dpp v23, v1 quad_perm:[1,0,3,2] row_mask:0xf bank_mask:0xf
	v_add_f32_e32 v1, v1, v23
	s_delay_alu instid0(VALU_DEP_1) | instskip(NEXT) | instid1(VALU_DEP_1)
	v_mov_b32_dpp v23, v1 quad_perm:[2,3,0,1] row_mask:0xf bank_mask:0xf
	v_add_f32_e32 v1, v1, v23
	s_delay_alu instid0(VALU_DEP_1) | instskip(NEXT) | instid1(VALU_DEP_1)
	v_mov_b32_dpp v23, v1 row_ror:4 row_mask:0xf bank_mask:0xf
	v_add_f32_e32 v1, v1, v23
	s_delay_alu instid0(VALU_DEP_1) | instskip(NEXT) | instid1(VALU_DEP_1)
	v_mov_b32_dpp v23, v1 row_ror:8 row_mask:0xf bank_mask:0xf
	v_add_f32_e32 v1, v1, v23
	ds_swizzle_b32 v23, v1 offset:swizzle(BROADCAST,32,15)
	s_waitcnt lgkmcnt(0)
	v_add_f32_e32 v1, v1, v23
	ds_bpermute_b32 v1, v17, v1
	s_and_saveexec_b32 s5, vcc_lo
	s_cbranch_execz .LBB48_4
; %bb.3:                                ;   in Loop: Header=BB48_2 Depth=1
	s_waitcnt lgkmcnt(0)
	ds_store_b32 v18, v1
.LBB48_4:                               ;   in Loop: Header=BB48_2 Depth=1
	s_or_b32 exec_lo, exec_lo, s5
	s_waitcnt lgkmcnt(0)
	s_barrier
	buffer_gl0_inv
	s_and_saveexec_b32 s5, s0
	s_cbranch_execz .LBB48_1
; %bb.5:                                ;   in Loop: Header=BB48_2 Depth=1
	ds_load_b32 v1, v19
	s_waitcnt lgkmcnt(0)
	ds_bpermute_b32 v23, v20, v1
	s_waitcnt lgkmcnt(0)
	v_add_f32_e32 v1, v1, v23
	ds_bpermute_b32 v23, v21, v1
	s_waitcnt lgkmcnt(0)
	v_add_f32_e32 v1, v1, v23
	;; [unrolled: 3-line block ×3, first 2 shown]
	s_branch .LBB48_1
.LBB48_6:
	s_mov_b32 s5, 0
	s_mov_b32 s0, exec_lo
	v_cmpx_eq_u32_e32 0, v0
	s_cbranch_execz .LBB48_8
; %bb.7:
	s_lshl_b64 s[0:1], s[4:5], 2
	v_mov_b32_e32 v0, 0
	s_add_u32 s0, s2, s0
	s_addc_u32 s1, s3, s1
	global_store_b32 v0, v1, s[0:1]
.LBB48_8:
	s_nop 0
	s_sendmsg sendmsg(MSG_DEALLOC_VGPRS)
	s_endpgm
	.section	.rodata,"a",@progbits
	.p2align	6, 0x0
	.amdhsa_kernel _Z6kernelI6reduceILN6hipcub20BlockReduceAlgorithmE0EEfLj256ELj16ELj100EEvPKT0_PS4_
		.amdhsa_group_segment_fixed_size 32
		.amdhsa_private_segment_fixed_size 0
		.amdhsa_kernarg_size 272
		.amdhsa_user_sgpr_count 15
		.amdhsa_user_sgpr_dispatch_ptr 0
		.amdhsa_user_sgpr_queue_ptr 0
		.amdhsa_user_sgpr_kernarg_segment_ptr 1
		.amdhsa_user_sgpr_dispatch_id 0
		.amdhsa_user_sgpr_private_segment_size 0
		.amdhsa_wavefront_size32 1
		.amdhsa_uses_dynamic_stack 0
		.amdhsa_enable_private_segment 0
		.amdhsa_system_sgpr_workgroup_id_x 1
		.amdhsa_system_sgpr_workgroup_id_y 0
		.amdhsa_system_sgpr_workgroup_id_z 0
		.amdhsa_system_sgpr_workgroup_info 0
		.amdhsa_system_vgpr_workitem_id 0
		.amdhsa_next_free_vgpr 26
		.amdhsa_next_free_sgpr 16
		.amdhsa_reserve_vcc 1
		.amdhsa_float_round_mode_32 0
		.amdhsa_float_round_mode_16_64 0
		.amdhsa_float_denorm_mode_32 3
		.amdhsa_float_denorm_mode_16_64 3
		.amdhsa_dx10_clamp 1
		.amdhsa_ieee_mode 1
		.amdhsa_fp16_overflow 0
		.amdhsa_workgroup_processor_mode 1
		.amdhsa_memory_ordered 1
		.amdhsa_forward_progress 0
		.amdhsa_shared_vgpr_count 0
		.amdhsa_exception_fp_ieee_invalid_op 0
		.amdhsa_exception_fp_denorm_src 0
		.amdhsa_exception_fp_ieee_div_zero 0
		.amdhsa_exception_fp_ieee_overflow 0
		.amdhsa_exception_fp_ieee_underflow 0
		.amdhsa_exception_fp_ieee_inexact 0
		.amdhsa_exception_int_div_zero 0
	.end_amdhsa_kernel
	.section	.text._Z6kernelI6reduceILN6hipcub20BlockReduceAlgorithmE0EEfLj256ELj16ELj100EEvPKT0_PS4_,"axG",@progbits,_Z6kernelI6reduceILN6hipcub20BlockReduceAlgorithmE0EEfLj256ELj16ELj100EEvPKT0_PS4_,comdat
.Lfunc_end48:
	.size	_Z6kernelI6reduceILN6hipcub20BlockReduceAlgorithmE0EEfLj256ELj16ELj100EEvPKT0_PS4_, .Lfunc_end48-_Z6kernelI6reduceILN6hipcub20BlockReduceAlgorithmE0EEfLj256ELj16ELj100EEvPKT0_PS4_
                                        ; -- End function
	.section	.AMDGPU.csdata,"",@progbits
; Kernel info:
; codeLenInByte = 640
; NumSgprs: 18
; NumVgprs: 26
; ScratchSize: 0
; MemoryBound: 0
; FloatMode: 240
; IeeeMode: 1
; LDSByteSize: 32 bytes/workgroup (compile time only)
; SGPRBlocks: 2
; VGPRBlocks: 3
; NumSGPRsForWavesPerEU: 18
; NumVGPRsForWavesPerEU: 26
; Occupancy: 16
; WaveLimiterHint : 0
; COMPUTE_PGM_RSRC2:SCRATCH_EN: 0
; COMPUTE_PGM_RSRC2:USER_SGPR: 15
; COMPUTE_PGM_RSRC2:TRAP_HANDLER: 0
; COMPUTE_PGM_RSRC2:TGID_X_EN: 1
; COMPUTE_PGM_RSRC2:TGID_Y_EN: 0
; COMPUTE_PGM_RSRC2:TGID_Z_EN: 0
; COMPUTE_PGM_RSRC2:TIDIG_COMP_CNT: 0
	.section	.text._Z6kernelI6reduceILN6hipcub20BlockReduceAlgorithmE0EEdLj256ELj1ELj100EEvPKT0_PS4_,"axG",@progbits,_Z6kernelI6reduceILN6hipcub20BlockReduceAlgorithmE0EEdLj256ELj1ELj100EEvPKT0_PS4_,comdat
	.protected	_Z6kernelI6reduceILN6hipcub20BlockReduceAlgorithmE0EEdLj256ELj1ELj100EEvPKT0_PS4_ ; -- Begin function _Z6kernelI6reduceILN6hipcub20BlockReduceAlgorithmE0EEdLj256ELj1ELj100EEvPKT0_PS4_
	.globl	_Z6kernelI6reduceILN6hipcub20BlockReduceAlgorithmE0EEdLj256ELj1ELj100EEvPKT0_PS4_
	.p2align	8
	.type	_Z6kernelI6reduceILN6hipcub20BlockReduceAlgorithmE0EEdLj256ELj1ELj100EEvPKT0_PS4_,@function
_Z6kernelI6reduceILN6hipcub20BlockReduceAlgorithmE0EEdLj256ELj1ELj100EEvPKT0_PS4_: ; @_Z6kernelI6reduceILN6hipcub20BlockReduceAlgorithmE0EEdLj256ELj1ELj100EEvPKT0_PS4_
; %bb.0:
	s_clause 0x1
	s_load_b32 s5, s[0:1], 0x1c
	s_load_b128 s[0:3], s[0:1], 0x0
	s_mov_b32 s4, s15
	v_mbcnt_lo_u32_b32 v8, -1, 0
	v_lshrrev_b32_e32 v4, 2, v0
	s_delay_alu instid0(VALU_DEP_2) | instskip(NEXT) | instid1(VALU_DEP_2)
	v_and_b32_e32 v5, 7, v8
	v_and_b32_e32 v4, 56, v4
	s_waitcnt lgkmcnt(0)
	s_and_b32 s5, s5, 0xffff
	s_delay_alu instid0(SALU_CYCLE_1) | instskip(SKIP_1) | instid1(VALU_DEP_1)
	v_mad_u64_u32 v[1:2], null, s4, s5, v[0:1]
	v_mov_b32_e32 v2, 0
	v_lshlrev_b64 v[1:2], 3, v[1:2]
	s_delay_alu instid0(VALU_DEP_1) | instskip(NEXT) | instid1(VALU_DEP_2)
	v_add_co_u32 v1, vcc_lo, s0, v1
	v_add_co_ci_u32_e32 v2, vcc_lo, s1, v2, vcc_lo
	v_cmp_gt_u32_e64 s1, 6, v5
	v_cmp_eq_u32_e32 vcc_lo, 0, v8
	v_cmp_gt_u32_e64 s0, 32, v0
	global_load_b64 v[1:2], v[1:2], off
	v_cndmask_b32_e64 v6, 0, 1, s1
	v_cmp_gt_u32_e64 s1, 4, v5
	s_delay_alu instid0(VALU_DEP_2) | instskip(NEXT) | instid1(VALU_DEP_2)
	v_dual_mov_b32 v3, 0x7c :: v_dual_lshlrev_b32 v10, 1, v6
	v_cndmask_b32_e64 v7, 0, 1, s1
	v_cmp_ne_u32_e64 s1, 7, v5
	v_lshlrev_b32_e32 v5, 3, v5
	s_delay_alu instid0(VALU_DEP_3) | instskip(NEXT) | instid1(VALU_DEP_3)
	v_lshlrev_b32_e32 v11, 2, v7
	v_add_co_ci_u32_e64 v9, s1, 0, v8, s1
	v_add_lshl_u32 v7, v10, v8, 2
	s_movk_i32 s1, 0x64
	s_delay_alu instid0(VALU_DEP_3) | instskip(NEXT) | instid1(VALU_DEP_3)
	v_add_lshl_u32 v8, v11, v8, 2
	v_lshlrev_b32_e32 v6, 2, v9
	s_branch .LBB49_2
.LBB49_1:                               ;   in Loop: Header=BB49_2 Depth=1
	s_or_b32 exec_lo, exec_lo, s5
	s_add_i32 s1, s1, -1
	s_delay_alu instid0(SALU_CYCLE_1)
	s_cmp_eq_u32 s1, 0
	s_cbranch_scc1 .LBB49_6
.LBB49_2:                               ; =>This Inner Loop Header: Depth=1
	s_waitcnt vmcnt(0)
	s_delay_alu instid0(VALU_DEP_1) | instskip(NEXT) | instid1(VALU_DEP_2)
	v_mov_b32_dpp v9, v1 quad_perm:[1,0,3,2] row_mask:0xf bank_mask:0xf
	v_mov_b32_dpp v10, v2 quad_perm:[1,0,3,2] row_mask:0xf bank_mask:0xf
	s_delay_alu instid0(VALU_DEP_1) | instskip(NEXT) | instid1(VALU_DEP_1)
	v_add_f64 v[1:2], v[1:2], v[9:10]
	v_mov_b32_dpp v9, v1 quad_perm:[2,3,0,1] row_mask:0xf bank_mask:0xf
	s_delay_alu instid0(VALU_DEP_2) | instskip(NEXT) | instid1(VALU_DEP_1)
	v_mov_b32_dpp v10, v2 quad_perm:[2,3,0,1] row_mask:0xf bank_mask:0xf
	v_add_f64 v[1:2], v[1:2], v[9:10]
	s_delay_alu instid0(VALU_DEP_1) | instskip(NEXT) | instid1(VALU_DEP_2)
	v_mov_b32_dpp v9, v1 row_ror:4 row_mask:0xf bank_mask:0xf
	v_mov_b32_dpp v10, v2 row_ror:4 row_mask:0xf bank_mask:0xf
	s_delay_alu instid0(VALU_DEP_1) | instskip(NEXT) | instid1(VALU_DEP_1)
	v_add_f64 v[1:2], v[1:2], v[9:10]
	v_mov_b32_dpp v9, v1 row_ror:8 row_mask:0xf bank_mask:0xf
	s_delay_alu instid0(VALU_DEP_2) | instskip(NEXT) | instid1(VALU_DEP_1)
	v_mov_b32_dpp v10, v2 row_ror:8 row_mask:0xf bank_mask:0xf
	v_add_f64 v[1:2], v[1:2], v[9:10]
	ds_swizzle_b32 v9, v1 offset:swizzle(BROADCAST,32,15)
	ds_swizzle_b32 v10, v2 offset:swizzle(BROADCAST,32,15)
	s_waitcnt lgkmcnt(0)
	v_add_f64 v[1:2], v[1:2], v[9:10]
	ds_bpermute_b32 v1, v3, v1
	ds_bpermute_b32 v2, v3, v2
	s_and_saveexec_b32 s5, vcc_lo
	s_cbranch_execz .LBB49_4
; %bb.3:                                ;   in Loop: Header=BB49_2 Depth=1
	s_waitcnt lgkmcnt(0)
	ds_store_b64 v4, v[1:2]
.LBB49_4:                               ;   in Loop: Header=BB49_2 Depth=1
	s_or_b32 exec_lo, exec_lo, s5
	s_waitcnt lgkmcnt(0)
	s_barrier
	buffer_gl0_inv
	s_and_saveexec_b32 s5, s0
	s_cbranch_execz .LBB49_1
; %bb.5:                                ;   in Loop: Header=BB49_2 Depth=1
	ds_load_b64 v[1:2], v5
	s_waitcnt lgkmcnt(0)
	ds_bpermute_b32 v9, v6, v1
	ds_bpermute_b32 v10, v6, v2
	s_waitcnt lgkmcnt(0)
	v_add_f64 v[1:2], v[1:2], v[9:10]
	ds_bpermute_b32 v9, v7, v1
	ds_bpermute_b32 v10, v7, v2
	s_waitcnt lgkmcnt(0)
	v_add_f64 v[1:2], v[1:2], v[9:10]
	;; [unrolled: 4-line block ×3, first 2 shown]
	s_branch .LBB49_1
.LBB49_6:
	s_mov_b32 s5, 0
	s_mov_b32 s0, exec_lo
	v_cmpx_eq_u32_e32 0, v0
	s_cbranch_execz .LBB49_8
; %bb.7:
	s_lshl_b64 s[0:1], s[4:5], 3
	v_mov_b32_e32 v0, 0
	s_add_u32 s0, s2, s0
	s_addc_u32 s1, s3, s1
	global_store_b64 v0, v[1:2], s[0:1]
.LBB49_8:
	s_nop 0
	s_sendmsg sendmsg(MSG_DEALLOC_VGPRS)
	s_endpgm
	.section	.rodata,"a",@progbits
	.p2align	6, 0x0
	.amdhsa_kernel _Z6kernelI6reduceILN6hipcub20BlockReduceAlgorithmE0EEdLj256ELj1ELj100EEvPKT0_PS4_
		.amdhsa_group_segment_fixed_size 64
		.amdhsa_private_segment_fixed_size 0
		.amdhsa_kernarg_size 272
		.amdhsa_user_sgpr_count 15
		.amdhsa_user_sgpr_dispatch_ptr 0
		.amdhsa_user_sgpr_queue_ptr 0
		.amdhsa_user_sgpr_kernarg_segment_ptr 1
		.amdhsa_user_sgpr_dispatch_id 0
		.amdhsa_user_sgpr_private_segment_size 0
		.amdhsa_wavefront_size32 1
		.amdhsa_uses_dynamic_stack 0
		.amdhsa_enable_private_segment 0
		.amdhsa_system_sgpr_workgroup_id_x 1
		.amdhsa_system_sgpr_workgroup_id_y 0
		.amdhsa_system_sgpr_workgroup_id_z 0
		.amdhsa_system_sgpr_workgroup_info 0
		.amdhsa_system_vgpr_workitem_id 0
		.amdhsa_next_free_vgpr 12
		.amdhsa_next_free_sgpr 16
		.amdhsa_reserve_vcc 1
		.amdhsa_float_round_mode_32 0
		.amdhsa_float_round_mode_16_64 0
		.amdhsa_float_denorm_mode_32 3
		.amdhsa_float_denorm_mode_16_64 3
		.amdhsa_dx10_clamp 1
		.amdhsa_ieee_mode 1
		.amdhsa_fp16_overflow 0
		.amdhsa_workgroup_processor_mode 1
		.amdhsa_memory_ordered 1
		.amdhsa_forward_progress 0
		.amdhsa_shared_vgpr_count 0
		.amdhsa_exception_fp_ieee_invalid_op 0
		.amdhsa_exception_fp_denorm_src 0
		.amdhsa_exception_fp_ieee_div_zero 0
		.amdhsa_exception_fp_ieee_overflow 0
		.amdhsa_exception_fp_ieee_underflow 0
		.amdhsa_exception_fp_ieee_inexact 0
		.amdhsa_exception_int_div_zero 0
	.end_amdhsa_kernel
	.section	.text._Z6kernelI6reduceILN6hipcub20BlockReduceAlgorithmE0EEdLj256ELj1ELj100EEvPKT0_PS4_,"axG",@progbits,_Z6kernelI6reduceILN6hipcub20BlockReduceAlgorithmE0EEdLj256ELj1ELj100EEvPKT0_PS4_,comdat
.Lfunc_end49:
	.size	_Z6kernelI6reduceILN6hipcub20BlockReduceAlgorithmE0EEdLj256ELj1ELj100EEvPKT0_PS4_, .Lfunc_end49-_Z6kernelI6reduceILN6hipcub20BlockReduceAlgorithmE0EEdLj256ELj1ELj100EEvPKT0_PS4_
                                        ; -- End function
	.section	.AMDGPU.csdata,"",@progbits
; Kernel info:
; codeLenInByte = 616
; NumSgprs: 18
; NumVgprs: 12
; ScratchSize: 0
; MemoryBound: 0
; FloatMode: 240
; IeeeMode: 1
; LDSByteSize: 64 bytes/workgroup (compile time only)
; SGPRBlocks: 2
; VGPRBlocks: 1
; NumSGPRsForWavesPerEU: 18
; NumVGPRsForWavesPerEU: 12
; Occupancy: 16
; WaveLimiterHint : 0
; COMPUTE_PGM_RSRC2:SCRATCH_EN: 0
; COMPUTE_PGM_RSRC2:USER_SGPR: 15
; COMPUTE_PGM_RSRC2:TRAP_HANDLER: 0
; COMPUTE_PGM_RSRC2:TGID_X_EN: 1
; COMPUTE_PGM_RSRC2:TGID_Y_EN: 0
; COMPUTE_PGM_RSRC2:TGID_Z_EN: 0
; COMPUTE_PGM_RSRC2:TIDIG_COMP_CNT: 0
	.section	.text._Z6kernelI6reduceILN6hipcub20BlockReduceAlgorithmE0EEdLj256ELj2ELj100EEvPKT0_PS4_,"axG",@progbits,_Z6kernelI6reduceILN6hipcub20BlockReduceAlgorithmE0EEdLj256ELj2ELj100EEvPKT0_PS4_,comdat
	.protected	_Z6kernelI6reduceILN6hipcub20BlockReduceAlgorithmE0EEdLj256ELj2ELj100EEvPKT0_PS4_ ; -- Begin function _Z6kernelI6reduceILN6hipcub20BlockReduceAlgorithmE0EEdLj256ELj2ELj100EEvPKT0_PS4_
	.globl	_Z6kernelI6reduceILN6hipcub20BlockReduceAlgorithmE0EEdLj256ELj2ELj100EEvPKT0_PS4_
	.p2align	8
	.type	_Z6kernelI6reduceILN6hipcub20BlockReduceAlgorithmE0EEdLj256ELj2ELj100EEvPKT0_PS4_,@function
_Z6kernelI6reduceILN6hipcub20BlockReduceAlgorithmE0EEdLj256ELj2ELj100EEvPKT0_PS4_: ; @_Z6kernelI6reduceILN6hipcub20BlockReduceAlgorithmE0EEdLj256ELj2ELj100EEvPKT0_PS4_
; %bb.0:
	s_clause 0x1
	s_load_b32 s5, s[0:1], 0x1c
	s_load_b128 s[0:3], s[0:1], 0x0
	v_mbcnt_lo_u32_b32 v10, -1, 0
	v_mov_b32_e32 v2, 0
	v_lshrrev_b32_e32 v6, 2, v0
	s_mov_b32 s4, s15
	s_delay_alu instid0(VALU_DEP_3) | instskip(NEXT) | instid1(VALU_DEP_2)
	v_and_b32_e32 v7, 7, v10
	v_and_b32_e32 v6, 56, v6
	s_waitcnt lgkmcnt(0)
	s_and_b32 s5, s5, 0xffff
	s_delay_alu instid0(SALU_CYCLE_1) | instskip(NEXT) | instid1(SALU_CYCLE_1)
	s_mul_i32 s5, s15, s5
	v_add_lshl_u32 v1, s5, v0, 1
	s_delay_alu instid0(VALU_DEP_1) | instskip(NEXT) | instid1(VALU_DEP_1)
	v_lshlrev_b64 v[1:2], 3, v[1:2]
	v_add_co_u32 v1, vcc_lo, s0, v1
	s_delay_alu instid0(VALU_DEP_2)
	v_add_co_ci_u32_e32 v2, vcc_lo, s1, v2, vcc_lo
	v_cmp_gt_u32_e64 s1, 6, v7
	v_cmp_eq_u32_e32 vcc_lo, 0, v10
	v_cmp_gt_u32_e64 s0, 32, v0
	global_load_b128 v[1:4], v[1:2], off
	v_cndmask_b32_e64 v8, 0, 1, s1
	v_cmp_gt_u32_e64 s1, 4, v7
	s_delay_alu instid0(VALU_DEP_2) | instskip(NEXT) | instid1(VALU_DEP_2)
	v_dual_mov_b32 v5, 0x7c :: v_dual_lshlrev_b32 v12, 1, v8
	v_cndmask_b32_e64 v9, 0, 1, s1
	v_cmp_ne_u32_e64 s1, 7, v7
	v_lshlrev_b32_e32 v7, 3, v7
	s_delay_alu instid0(VALU_DEP_3) | instskip(NEXT) | instid1(VALU_DEP_3)
	v_lshlrev_b32_e32 v13, 2, v9
	v_add_co_ci_u32_e64 v11, s1, 0, v10, s1
	v_add_lshl_u32 v9, v12, v10, 2
	s_movk_i32 s1, 0x64
	s_delay_alu instid0(VALU_DEP_3) | instskip(NEXT) | instid1(VALU_DEP_3)
	v_add_lshl_u32 v10, v13, v10, 2
	v_lshlrev_b32_e32 v8, 2, v11
	s_branch .LBB50_2
.LBB50_1:                               ;   in Loop: Header=BB50_2 Depth=1
	s_or_b32 exec_lo, exec_lo, s5
	s_add_i32 s1, s1, -1
	s_delay_alu instid0(SALU_CYCLE_1)
	s_cmp_eq_u32 s1, 0
	s_cbranch_scc1 .LBB50_6
.LBB50_2:                               ; =>This Inner Loop Header: Depth=1
	s_waitcnt vmcnt(0)
	s_delay_alu instid0(VALU_DEP_1) | instskip(NEXT) | instid1(VALU_DEP_1)
	v_add_f64 v[1:2], v[1:2], v[3:4]
	v_mov_b32_dpp v11, v1 quad_perm:[1,0,3,2] row_mask:0xf bank_mask:0xf
	s_delay_alu instid0(VALU_DEP_2) | instskip(NEXT) | instid1(VALU_DEP_1)
	v_mov_b32_dpp v12, v2 quad_perm:[1,0,3,2] row_mask:0xf bank_mask:0xf
	v_add_f64 v[1:2], v[1:2], v[11:12]
	s_delay_alu instid0(VALU_DEP_1) | instskip(NEXT) | instid1(VALU_DEP_2)
	v_mov_b32_dpp v11, v1 quad_perm:[2,3,0,1] row_mask:0xf bank_mask:0xf
	v_mov_b32_dpp v12, v2 quad_perm:[2,3,0,1] row_mask:0xf bank_mask:0xf
	s_delay_alu instid0(VALU_DEP_1) | instskip(NEXT) | instid1(VALU_DEP_1)
	v_add_f64 v[1:2], v[1:2], v[11:12]
	v_mov_b32_dpp v11, v1 row_ror:4 row_mask:0xf bank_mask:0xf
	s_delay_alu instid0(VALU_DEP_2) | instskip(NEXT) | instid1(VALU_DEP_1)
	v_mov_b32_dpp v12, v2 row_ror:4 row_mask:0xf bank_mask:0xf
	v_add_f64 v[1:2], v[1:2], v[11:12]
	s_delay_alu instid0(VALU_DEP_1) | instskip(NEXT) | instid1(VALU_DEP_2)
	v_mov_b32_dpp v11, v1 row_ror:8 row_mask:0xf bank_mask:0xf
	v_mov_b32_dpp v12, v2 row_ror:8 row_mask:0xf bank_mask:0xf
	s_delay_alu instid0(VALU_DEP_1)
	v_add_f64 v[1:2], v[1:2], v[11:12]
	ds_swizzle_b32 v11, v1 offset:swizzle(BROADCAST,32,15)
	ds_swizzle_b32 v12, v2 offset:swizzle(BROADCAST,32,15)
	s_waitcnt lgkmcnt(0)
	v_add_f64 v[1:2], v[1:2], v[11:12]
	ds_bpermute_b32 v1, v5, v1
	ds_bpermute_b32 v2, v5, v2
	s_and_saveexec_b32 s5, vcc_lo
	s_cbranch_execz .LBB50_4
; %bb.3:                                ;   in Loop: Header=BB50_2 Depth=1
	s_waitcnt lgkmcnt(0)
	ds_store_b64 v6, v[1:2]
.LBB50_4:                               ;   in Loop: Header=BB50_2 Depth=1
	s_or_b32 exec_lo, exec_lo, s5
	s_waitcnt lgkmcnt(0)
	s_barrier
	buffer_gl0_inv
	s_and_saveexec_b32 s5, s0
	s_cbranch_execz .LBB50_1
; %bb.5:                                ;   in Loop: Header=BB50_2 Depth=1
	ds_load_b64 v[1:2], v7
	s_waitcnt lgkmcnt(0)
	ds_bpermute_b32 v11, v8, v1
	ds_bpermute_b32 v12, v8, v2
	s_waitcnt lgkmcnt(0)
	v_add_f64 v[1:2], v[1:2], v[11:12]
	ds_bpermute_b32 v11, v9, v1
	ds_bpermute_b32 v12, v9, v2
	s_waitcnt lgkmcnt(0)
	v_add_f64 v[1:2], v[1:2], v[11:12]
	;; [unrolled: 4-line block ×3, first 2 shown]
	s_branch .LBB50_1
.LBB50_6:
	s_mov_b32 s5, 0
	s_mov_b32 s0, exec_lo
	v_cmpx_eq_u32_e32 0, v0
	s_cbranch_execz .LBB50_8
; %bb.7:
	s_lshl_b64 s[0:1], s[4:5], 3
	v_mov_b32_e32 v0, 0
	s_add_u32 s0, s2, s0
	s_addc_u32 s1, s3, s1
	global_store_b64 v0, v[1:2], s[0:1]
.LBB50_8:
	s_nop 0
	s_sendmsg sendmsg(MSG_DEALLOC_VGPRS)
	s_endpgm
	.section	.rodata,"a",@progbits
	.p2align	6, 0x0
	.amdhsa_kernel _Z6kernelI6reduceILN6hipcub20BlockReduceAlgorithmE0EEdLj256ELj2ELj100EEvPKT0_PS4_
		.amdhsa_group_segment_fixed_size 64
		.amdhsa_private_segment_fixed_size 0
		.amdhsa_kernarg_size 272
		.amdhsa_user_sgpr_count 15
		.amdhsa_user_sgpr_dispatch_ptr 0
		.amdhsa_user_sgpr_queue_ptr 0
		.amdhsa_user_sgpr_kernarg_segment_ptr 1
		.amdhsa_user_sgpr_dispatch_id 0
		.amdhsa_user_sgpr_private_segment_size 0
		.amdhsa_wavefront_size32 1
		.amdhsa_uses_dynamic_stack 0
		.amdhsa_enable_private_segment 0
		.amdhsa_system_sgpr_workgroup_id_x 1
		.amdhsa_system_sgpr_workgroup_id_y 0
		.amdhsa_system_sgpr_workgroup_id_z 0
		.amdhsa_system_sgpr_workgroup_info 0
		.amdhsa_system_vgpr_workitem_id 0
		.amdhsa_next_free_vgpr 14
		.amdhsa_next_free_sgpr 16
		.amdhsa_reserve_vcc 1
		.amdhsa_float_round_mode_32 0
		.amdhsa_float_round_mode_16_64 0
		.amdhsa_float_denorm_mode_32 3
		.amdhsa_float_denorm_mode_16_64 3
		.amdhsa_dx10_clamp 1
		.amdhsa_ieee_mode 1
		.amdhsa_fp16_overflow 0
		.amdhsa_workgroup_processor_mode 1
		.amdhsa_memory_ordered 1
		.amdhsa_forward_progress 0
		.amdhsa_shared_vgpr_count 0
		.amdhsa_exception_fp_ieee_invalid_op 0
		.amdhsa_exception_fp_denorm_src 0
		.amdhsa_exception_fp_ieee_div_zero 0
		.amdhsa_exception_fp_ieee_overflow 0
		.amdhsa_exception_fp_ieee_underflow 0
		.amdhsa_exception_fp_ieee_inexact 0
		.amdhsa_exception_int_div_zero 0
	.end_amdhsa_kernel
	.section	.text._Z6kernelI6reduceILN6hipcub20BlockReduceAlgorithmE0EEdLj256ELj2ELj100EEvPKT0_PS4_,"axG",@progbits,_Z6kernelI6reduceILN6hipcub20BlockReduceAlgorithmE0EEdLj256ELj2ELj100EEvPKT0_PS4_,comdat
.Lfunc_end50:
	.size	_Z6kernelI6reduceILN6hipcub20BlockReduceAlgorithmE0EEdLj256ELj2ELj100EEvPKT0_PS4_, .Lfunc_end50-_Z6kernelI6reduceILN6hipcub20BlockReduceAlgorithmE0EEdLj256ELj2ELj100EEvPKT0_PS4_
                                        ; -- End function
	.section	.AMDGPU.csdata,"",@progbits
; Kernel info:
; codeLenInByte = 636
; NumSgprs: 18
; NumVgprs: 14
; ScratchSize: 0
; MemoryBound: 0
; FloatMode: 240
; IeeeMode: 1
; LDSByteSize: 64 bytes/workgroup (compile time only)
; SGPRBlocks: 2
; VGPRBlocks: 1
; NumSGPRsForWavesPerEU: 18
; NumVGPRsForWavesPerEU: 14
; Occupancy: 16
; WaveLimiterHint : 0
; COMPUTE_PGM_RSRC2:SCRATCH_EN: 0
; COMPUTE_PGM_RSRC2:USER_SGPR: 15
; COMPUTE_PGM_RSRC2:TRAP_HANDLER: 0
; COMPUTE_PGM_RSRC2:TGID_X_EN: 1
; COMPUTE_PGM_RSRC2:TGID_Y_EN: 0
; COMPUTE_PGM_RSRC2:TGID_Z_EN: 0
; COMPUTE_PGM_RSRC2:TIDIG_COMP_CNT: 0
	.section	.text._Z6kernelI6reduceILN6hipcub20BlockReduceAlgorithmE0EEdLj256ELj3ELj100EEvPKT0_PS4_,"axG",@progbits,_Z6kernelI6reduceILN6hipcub20BlockReduceAlgorithmE0EEdLj256ELj3ELj100EEvPKT0_PS4_,comdat
	.protected	_Z6kernelI6reduceILN6hipcub20BlockReduceAlgorithmE0EEdLj256ELj3ELj100EEvPKT0_PS4_ ; -- Begin function _Z6kernelI6reduceILN6hipcub20BlockReduceAlgorithmE0EEdLj256ELj3ELj100EEvPKT0_PS4_
	.globl	_Z6kernelI6reduceILN6hipcub20BlockReduceAlgorithmE0EEdLj256ELj3ELj100EEvPKT0_PS4_
	.p2align	8
	.type	_Z6kernelI6reduceILN6hipcub20BlockReduceAlgorithmE0EEdLj256ELj3ELj100EEvPKT0_PS4_,@function
_Z6kernelI6reduceILN6hipcub20BlockReduceAlgorithmE0EEdLj256ELj3ELj100EEvPKT0_PS4_: ; @_Z6kernelI6reduceILN6hipcub20BlockReduceAlgorithmE0EEdLj256ELj3ELj100EEvPKT0_PS4_
; %bb.0:
	s_load_b32 s2, s[0:1], 0x1c
	s_mov_b32 s4, s15
	v_mbcnt_lo_u32_b32 v12, -1, 0
	s_delay_alu instid0(VALU_DEP_1) | instskip(SKIP_2) | instid1(SALU_CYCLE_1)
	v_and_b32_e32 v9, 7, v12
	s_waitcnt lgkmcnt(0)
	s_and_b32 s2, s2, 0xffff
	v_mad_u64_u32 v[1:2], null, s4, s2, v[0:1]
	s_load_b128 s[0:3], s[0:1], 0x0
	s_delay_alu instid0(VALU_DEP_1) | instskip(NEXT) | instid1(VALU_DEP_1)
	v_lshl_add_u32 v1, v1, 1, v1
	v_dual_mov_b32 v2, 0 :: v_dual_add_nc_u32 v3, 1, v1
	s_delay_alu instid0(VALU_DEP_1) | instskip(SKIP_2) | instid1(VALU_DEP_3)
	v_mov_b32_e32 v4, v2
	v_lshlrev_b64 v[5:6], 3, v[1:2]
	v_add_nc_u32_e32 v1, 2, v1
	v_lshlrev_b64 v[3:4], 3, v[3:4]
	s_delay_alu instid0(VALU_DEP_2) | instskip(SKIP_1) | instid1(VALU_DEP_4)
	v_lshlrev_b64 v[1:2], 3, v[1:2]
	s_waitcnt lgkmcnt(0)
	v_add_co_u32 v5, vcc_lo, s0, v5
	v_add_co_ci_u32_e32 v6, vcc_lo, s1, v6, vcc_lo
	s_delay_alu instid0(VALU_DEP_4)
	v_add_co_u32 v3, vcc_lo, s0, v3
	v_add_co_ci_u32_e32 v4, vcc_lo, s1, v4, vcc_lo
	v_add_co_u32 v7, vcc_lo, s0, v1
	v_add_co_ci_u32_e32 v8, vcc_lo, s1, v2, vcc_lo
	s_clause 0x2
	global_load_b64 v[5:6], v[5:6], off
	global_load_b64 v[1:2], v[3:4], off
	;; [unrolled: 1-line block ×3, first 2 shown]
	v_cmp_gt_u32_e64 s1, 6, v9
	v_lshrrev_b32_e32 v8, 2, v0
	v_cmp_eq_u32_e32 vcc_lo, 0, v12
	v_cmp_gt_u32_e64 s0, 32, v0
	s_delay_alu instid0(VALU_DEP_4) | instskip(SKIP_2) | instid1(VALU_DEP_3)
	v_cndmask_b32_e64 v10, 0, 1, s1
	v_cmp_gt_u32_e64 s1, 4, v9
	v_dual_mov_b32 v7, 0x7c :: v_dual_and_b32 v8, 56, v8
	v_lshlrev_b32_e32 v14, 1, v10
	s_delay_alu instid0(VALU_DEP_3) | instskip(SKIP_2) | instid1(VALU_DEP_3)
	v_cndmask_b32_e64 v11, 0, 1, s1
	v_cmp_ne_u32_e64 s1, 7, v9
	v_lshlrev_b32_e32 v9, 3, v9
	v_lshlrev_b32_e32 v15, 2, v11
	s_delay_alu instid0(VALU_DEP_3) | instskip(SKIP_2) | instid1(VALU_DEP_3)
	v_add_co_ci_u32_e64 v13, s1, 0, v12, s1
	v_add_lshl_u32 v11, v14, v12, 2
	s_movk_i32 s1, 0x64
	v_add_lshl_u32 v12, v15, v12, 2
	s_delay_alu instid0(VALU_DEP_3)
	v_lshlrev_b32_e32 v10, 2, v13
	s_branch .LBB51_2
.LBB51_1:                               ;   in Loop: Header=BB51_2 Depth=1
	s_or_b32 exec_lo, exec_lo, s5
	s_add_i32 s1, s1, -1
	s_delay_alu instid0(SALU_CYCLE_1)
	s_cmp_eq_u32 s1, 0
	s_cbranch_scc1 .LBB51_6
.LBB51_2:                               ; =>This Inner Loop Header: Depth=1
	s_waitcnt vmcnt(1)
	s_delay_alu instid0(VALU_DEP_1) | instskip(SKIP_1) | instid1(VALU_DEP_1)
	v_add_f64 v[5:6], v[5:6], v[1:2]
	s_waitcnt vmcnt(0)
	v_add_f64 v[5:6], v[3:4], v[5:6]
	s_delay_alu instid0(VALU_DEP_1) | instskip(NEXT) | instid1(VALU_DEP_2)
	v_mov_b32_dpp v13, v5 quad_perm:[1,0,3,2] row_mask:0xf bank_mask:0xf
	v_mov_b32_dpp v14, v6 quad_perm:[1,0,3,2] row_mask:0xf bank_mask:0xf
	s_delay_alu instid0(VALU_DEP_1) | instskip(NEXT) | instid1(VALU_DEP_1)
	v_add_f64 v[5:6], v[5:6], v[13:14]
	v_mov_b32_dpp v13, v5 quad_perm:[2,3,0,1] row_mask:0xf bank_mask:0xf
	s_delay_alu instid0(VALU_DEP_2) | instskip(NEXT) | instid1(VALU_DEP_1)
	v_mov_b32_dpp v14, v6 quad_perm:[2,3,0,1] row_mask:0xf bank_mask:0xf
	v_add_f64 v[5:6], v[5:6], v[13:14]
	s_delay_alu instid0(VALU_DEP_1) | instskip(NEXT) | instid1(VALU_DEP_2)
	v_mov_b32_dpp v13, v5 row_ror:4 row_mask:0xf bank_mask:0xf
	v_mov_b32_dpp v14, v6 row_ror:4 row_mask:0xf bank_mask:0xf
	s_delay_alu instid0(VALU_DEP_1) | instskip(NEXT) | instid1(VALU_DEP_1)
	v_add_f64 v[5:6], v[5:6], v[13:14]
	v_mov_b32_dpp v13, v5 row_ror:8 row_mask:0xf bank_mask:0xf
	s_delay_alu instid0(VALU_DEP_2) | instskip(NEXT) | instid1(VALU_DEP_1)
	v_mov_b32_dpp v14, v6 row_ror:8 row_mask:0xf bank_mask:0xf
	v_add_f64 v[5:6], v[5:6], v[13:14]
	ds_swizzle_b32 v13, v5 offset:swizzle(BROADCAST,32,15)
	ds_swizzle_b32 v14, v6 offset:swizzle(BROADCAST,32,15)
	s_waitcnt lgkmcnt(0)
	v_add_f64 v[5:6], v[5:6], v[13:14]
	ds_bpermute_b32 v5, v7, v5
	ds_bpermute_b32 v6, v7, v6
	s_and_saveexec_b32 s5, vcc_lo
	s_cbranch_execz .LBB51_4
; %bb.3:                                ;   in Loop: Header=BB51_2 Depth=1
	s_waitcnt lgkmcnt(0)
	ds_store_b64 v8, v[5:6]
.LBB51_4:                               ;   in Loop: Header=BB51_2 Depth=1
	s_or_b32 exec_lo, exec_lo, s5
	s_waitcnt lgkmcnt(0)
	s_barrier
	buffer_gl0_inv
	s_and_saveexec_b32 s5, s0
	s_cbranch_execz .LBB51_1
; %bb.5:                                ;   in Loop: Header=BB51_2 Depth=1
	ds_load_b64 v[5:6], v9
	s_waitcnt lgkmcnt(0)
	ds_bpermute_b32 v13, v10, v5
	ds_bpermute_b32 v14, v10, v6
	s_waitcnt lgkmcnt(0)
	v_add_f64 v[5:6], v[5:6], v[13:14]
	ds_bpermute_b32 v13, v11, v5
	ds_bpermute_b32 v14, v11, v6
	s_waitcnt lgkmcnt(0)
	v_add_f64 v[5:6], v[5:6], v[13:14]
	;; [unrolled: 4-line block ×3, first 2 shown]
	s_branch .LBB51_1
.LBB51_6:
	s_mov_b32 s5, 0
	s_mov_b32 s0, exec_lo
	v_cmpx_eq_u32_e32 0, v0
	s_cbranch_execz .LBB51_8
; %bb.7:
	s_lshl_b64 s[0:1], s[4:5], 3
	v_mov_b32_e32 v0, 0
	s_add_u32 s0, s2, s0
	s_addc_u32 s1, s3, s1
	global_store_b64 v0, v[5:6], s[0:1]
.LBB51_8:
	s_nop 0
	s_sendmsg sendmsg(MSG_DEALLOC_VGPRS)
	s_endpgm
	.section	.rodata,"a",@progbits
	.p2align	6, 0x0
	.amdhsa_kernel _Z6kernelI6reduceILN6hipcub20BlockReduceAlgorithmE0EEdLj256ELj3ELj100EEvPKT0_PS4_
		.amdhsa_group_segment_fixed_size 64
		.amdhsa_private_segment_fixed_size 0
		.amdhsa_kernarg_size 272
		.amdhsa_user_sgpr_count 15
		.amdhsa_user_sgpr_dispatch_ptr 0
		.amdhsa_user_sgpr_queue_ptr 0
		.amdhsa_user_sgpr_kernarg_segment_ptr 1
		.amdhsa_user_sgpr_dispatch_id 0
		.amdhsa_user_sgpr_private_segment_size 0
		.amdhsa_wavefront_size32 1
		.amdhsa_uses_dynamic_stack 0
		.amdhsa_enable_private_segment 0
		.amdhsa_system_sgpr_workgroup_id_x 1
		.amdhsa_system_sgpr_workgroup_id_y 0
		.amdhsa_system_sgpr_workgroup_id_z 0
		.amdhsa_system_sgpr_workgroup_info 0
		.amdhsa_system_vgpr_workitem_id 0
		.amdhsa_next_free_vgpr 16
		.amdhsa_next_free_sgpr 16
		.amdhsa_reserve_vcc 1
		.amdhsa_float_round_mode_32 0
		.amdhsa_float_round_mode_16_64 0
		.amdhsa_float_denorm_mode_32 3
		.amdhsa_float_denorm_mode_16_64 3
		.amdhsa_dx10_clamp 1
		.amdhsa_ieee_mode 1
		.amdhsa_fp16_overflow 0
		.amdhsa_workgroup_processor_mode 1
		.amdhsa_memory_ordered 1
		.amdhsa_forward_progress 0
		.amdhsa_shared_vgpr_count 0
		.amdhsa_exception_fp_ieee_invalid_op 0
		.amdhsa_exception_fp_denorm_src 0
		.amdhsa_exception_fp_ieee_div_zero 0
		.amdhsa_exception_fp_ieee_overflow 0
		.amdhsa_exception_fp_ieee_underflow 0
		.amdhsa_exception_fp_ieee_inexact 0
		.amdhsa_exception_int_div_zero 0
	.end_amdhsa_kernel
	.section	.text._Z6kernelI6reduceILN6hipcub20BlockReduceAlgorithmE0EEdLj256ELj3ELj100EEvPKT0_PS4_,"axG",@progbits,_Z6kernelI6reduceILN6hipcub20BlockReduceAlgorithmE0EEdLj256ELj3ELj100EEvPKT0_PS4_,comdat
.Lfunc_end51:
	.size	_Z6kernelI6reduceILN6hipcub20BlockReduceAlgorithmE0EEdLj256ELj3ELj100EEvPKT0_PS4_, .Lfunc_end51-_Z6kernelI6reduceILN6hipcub20BlockReduceAlgorithmE0EEdLj256ELj3ELj100EEvPKT0_PS4_
                                        ; -- End function
	.section	.AMDGPU.csdata,"",@progbits
; Kernel info:
; codeLenInByte = 732
; NumSgprs: 18
; NumVgprs: 16
; ScratchSize: 0
; MemoryBound: 0
; FloatMode: 240
; IeeeMode: 1
; LDSByteSize: 64 bytes/workgroup (compile time only)
; SGPRBlocks: 2
; VGPRBlocks: 1
; NumSGPRsForWavesPerEU: 18
; NumVGPRsForWavesPerEU: 16
; Occupancy: 16
; WaveLimiterHint : 0
; COMPUTE_PGM_RSRC2:SCRATCH_EN: 0
; COMPUTE_PGM_RSRC2:USER_SGPR: 15
; COMPUTE_PGM_RSRC2:TRAP_HANDLER: 0
; COMPUTE_PGM_RSRC2:TGID_X_EN: 1
; COMPUTE_PGM_RSRC2:TGID_Y_EN: 0
; COMPUTE_PGM_RSRC2:TGID_Z_EN: 0
; COMPUTE_PGM_RSRC2:TIDIG_COMP_CNT: 0
	.section	.text._Z6kernelI6reduceILN6hipcub20BlockReduceAlgorithmE0EEdLj256ELj4ELj100EEvPKT0_PS4_,"axG",@progbits,_Z6kernelI6reduceILN6hipcub20BlockReduceAlgorithmE0EEdLj256ELj4ELj100EEvPKT0_PS4_,comdat
	.protected	_Z6kernelI6reduceILN6hipcub20BlockReduceAlgorithmE0EEdLj256ELj4ELj100EEvPKT0_PS4_ ; -- Begin function _Z6kernelI6reduceILN6hipcub20BlockReduceAlgorithmE0EEdLj256ELj4ELj100EEvPKT0_PS4_
	.globl	_Z6kernelI6reduceILN6hipcub20BlockReduceAlgorithmE0EEdLj256ELj4ELj100EEvPKT0_PS4_
	.p2align	8
	.type	_Z6kernelI6reduceILN6hipcub20BlockReduceAlgorithmE0EEdLj256ELj4ELj100EEvPKT0_PS4_,@function
_Z6kernelI6reduceILN6hipcub20BlockReduceAlgorithmE0EEdLj256ELj4ELj100EEvPKT0_PS4_: ; @_Z6kernelI6reduceILN6hipcub20BlockReduceAlgorithmE0EEdLj256ELj4ELj100EEvPKT0_PS4_
; %bb.0:
	s_clause 0x1
	s_load_b32 s5, s[0:1], 0x1c
	s_load_b128 s[0:3], s[0:1], 0x0
	v_mbcnt_lo_u32_b32 v14, -1, 0
	v_mov_b32_e32 v2, 0
	v_lshrrev_b32_e32 v10, 2, v0
	s_mov_b32 s4, s15
	s_delay_alu instid0(VALU_DEP_3) | instskip(NEXT) | instid1(VALU_DEP_2)
	v_and_b32_e32 v11, 7, v14
	v_and_b32_e32 v10, 56, v10
	s_waitcnt lgkmcnt(0)
	s_and_b32 s5, s5, 0xffff
	s_delay_alu instid0(SALU_CYCLE_1) | instskip(NEXT) | instid1(SALU_CYCLE_1)
	s_mul_i32 s5, s15, s5
	v_add_lshl_u32 v1, s5, v0, 2
	s_delay_alu instid0(VALU_DEP_1) | instskip(NEXT) | instid1(VALU_DEP_1)
	v_lshlrev_b64 v[1:2], 3, v[1:2]
	v_add_co_u32 v1, vcc_lo, s0, v1
	s_delay_alu instid0(VALU_DEP_2)
	v_add_co_ci_u32_e32 v2, vcc_lo, s1, v2, vcc_lo
	v_cmp_gt_u32_e64 s1, 6, v11
	v_cmp_eq_u32_e32 vcc_lo, 0, v14
	v_cmp_gt_u32_e64 s0, 32, v0
	s_clause 0x1
	global_load_b128 v[5:8], v[1:2], off offset:16
	global_load_b128 v[1:4], v[1:2], off
	v_cndmask_b32_e64 v12, 0, 1, s1
	v_cmp_gt_u32_e64 s1, 4, v11
	s_delay_alu instid0(VALU_DEP_2) | instskip(NEXT) | instid1(VALU_DEP_2)
	v_dual_mov_b32 v9, 0x7c :: v_dual_lshlrev_b32 v16, 1, v12
	v_cndmask_b32_e64 v13, 0, 1, s1
	v_cmp_ne_u32_e64 s1, 7, v11
	v_lshlrev_b32_e32 v11, 3, v11
	s_delay_alu instid0(VALU_DEP_3) | instskip(NEXT) | instid1(VALU_DEP_3)
	v_lshlrev_b32_e32 v17, 2, v13
	v_add_co_ci_u32_e64 v15, s1, 0, v14, s1
	v_add_lshl_u32 v13, v16, v14, 2
	s_movk_i32 s1, 0x64
	s_delay_alu instid0(VALU_DEP_3) | instskip(NEXT) | instid1(VALU_DEP_3)
	v_add_lshl_u32 v14, v17, v14, 2
	v_lshlrev_b32_e32 v12, 2, v15
	s_branch .LBB52_2
.LBB52_1:                               ;   in Loop: Header=BB52_2 Depth=1
	s_or_b32 exec_lo, exec_lo, s5
	s_add_i32 s1, s1, -1
	s_delay_alu instid0(SALU_CYCLE_1)
	s_cmp_eq_u32 s1, 0
	s_cbranch_scc1 .LBB52_6
.LBB52_2:                               ; =>This Inner Loop Header: Depth=1
	s_waitcnt vmcnt(0)
	s_delay_alu instid0(VALU_DEP_1) | instskip(NEXT) | instid1(VALU_DEP_1)
	v_add_f64 v[1:2], v[1:2], v[3:4]
	v_add_f64 v[1:2], v[5:6], v[1:2]
	s_delay_alu instid0(VALU_DEP_1) | instskip(NEXT) | instid1(VALU_DEP_1)
	v_add_f64 v[1:2], v[7:8], v[1:2]
	v_mov_b32_dpp v15, v1 quad_perm:[1,0,3,2] row_mask:0xf bank_mask:0xf
	s_delay_alu instid0(VALU_DEP_2) | instskip(NEXT) | instid1(VALU_DEP_1)
	v_mov_b32_dpp v16, v2 quad_perm:[1,0,3,2] row_mask:0xf bank_mask:0xf
	v_add_f64 v[1:2], v[1:2], v[15:16]
	s_delay_alu instid0(VALU_DEP_1) | instskip(NEXT) | instid1(VALU_DEP_2)
	v_mov_b32_dpp v15, v1 quad_perm:[2,3,0,1] row_mask:0xf bank_mask:0xf
	v_mov_b32_dpp v16, v2 quad_perm:[2,3,0,1] row_mask:0xf bank_mask:0xf
	s_delay_alu instid0(VALU_DEP_1) | instskip(NEXT) | instid1(VALU_DEP_1)
	v_add_f64 v[1:2], v[1:2], v[15:16]
	v_mov_b32_dpp v15, v1 row_ror:4 row_mask:0xf bank_mask:0xf
	s_delay_alu instid0(VALU_DEP_2) | instskip(NEXT) | instid1(VALU_DEP_1)
	v_mov_b32_dpp v16, v2 row_ror:4 row_mask:0xf bank_mask:0xf
	v_add_f64 v[1:2], v[1:2], v[15:16]
	s_delay_alu instid0(VALU_DEP_1) | instskip(NEXT) | instid1(VALU_DEP_2)
	v_mov_b32_dpp v15, v1 row_ror:8 row_mask:0xf bank_mask:0xf
	v_mov_b32_dpp v16, v2 row_ror:8 row_mask:0xf bank_mask:0xf
	s_delay_alu instid0(VALU_DEP_1)
	v_add_f64 v[1:2], v[1:2], v[15:16]
	ds_swizzle_b32 v15, v1 offset:swizzle(BROADCAST,32,15)
	ds_swizzle_b32 v16, v2 offset:swizzle(BROADCAST,32,15)
	s_waitcnt lgkmcnt(0)
	v_add_f64 v[1:2], v[1:2], v[15:16]
	ds_bpermute_b32 v1, v9, v1
	ds_bpermute_b32 v2, v9, v2
	s_and_saveexec_b32 s5, vcc_lo
	s_cbranch_execz .LBB52_4
; %bb.3:                                ;   in Loop: Header=BB52_2 Depth=1
	s_waitcnt lgkmcnt(0)
	ds_store_b64 v10, v[1:2]
.LBB52_4:                               ;   in Loop: Header=BB52_2 Depth=1
	s_or_b32 exec_lo, exec_lo, s5
	s_waitcnt lgkmcnt(0)
	s_barrier
	buffer_gl0_inv
	s_and_saveexec_b32 s5, s0
	s_cbranch_execz .LBB52_1
; %bb.5:                                ;   in Loop: Header=BB52_2 Depth=1
	ds_load_b64 v[1:2], v11
	s_waitcnt lgkmcnt(0)
	ds_bpermute_b32 v15, v12, v1
	ds_bpermute_b32 v16, v12, v2
	s_waitcnt lgkmcnt(0)
	v_add_f64 v[1:2], v[1:2], v[15:16]
	ds_bpermute_b32 v15, v13, v1
	ds_bpermute_b32 v16, v13, v2
	s_waitcnt lgkmcnt(0)
	v_add_f64 v[1:2], v[1:2], v[15:16]
	;; [unrolled: 4-line block ×3, first 2 shown]
	s_branch .LBB52_1
.LBB52_6:
	s_mov_b32 s5, 0
	s_mov_b32 s0, exec_lo
	v_cmpx_eq_u32_e32 0, v0
	s_cbranch_execz .LBB52_8
; %bb.7:
	s_lshl_b64 s[0:1], s[4:5], 3
	v_mov_b32_e32 v0, 0
	s_add_u32 s0, s2, s0
	s_addc_u32 s1, s3, s1
	global_store_b64 v0, v[1:2], s[0:1]
.LBB52_8:
	s_nop 0
	s_sendmsg sendmsg(MSG_DEALLOC_VGPRS)
	s_endpgm
	.section	.rodata,"a",@progbits
	.p2align	6, 0x0
	.amdhsa_kernel _Z6kernelI6reduceILN6hipcub20BlockReduceAlgorithmE0EEdLj256ELj4ELj100EEvPKT0_PS4_
		.amdhsa_group_segment_fixed_size 64
		.amdhsa_private_segment_fixed_size 0
		.amdhsa_kernarg_size 272
		.amdhsa_user_sgpr_count 15
		.amdhsa_user_sgpr_dispatch_ptr 0
		.amdhsa_user_sgpr_queue_ptr 0
		.amdhsa_user_sgpr_kernarg_segment_ptr 1
		.amdhsa_user_sgpr_dispatch_id 0
		.amdhsa_user_sgpr_private_segment_size 0
		.amdhsa_wavefront_size32 1
		.amdhsa_uses_dynamic_stack 0
		.amdhsa_enable_private_segment 0
		.amdhsa_system_sgpr_workgroup_id_x 1
		.amdhsa_system_sgpr_workgroup_id_y 0
		.amdhsa_system_sgpr_workgroup_id_z 0
		.amdhsa_system_sgpr_workgroup_info 0
		.amdhsa_system_vgpr_workitem_id 0
		.amdhsa_next_free_vgpr 18
		.amdhsa_next_free_sgpr 16
		.amdhsa_reserve_vcc 1
		.amdhsa_float_round_mode_32 0
		.amdhsa_float_round_mode_16_64 0
		.amdhsa_float_denorm_mode_32 3
		.amdhsa_float_denorm_mode_16_64 3
		.amdhsa_dx10_clamp 1
		.amdhsa_ieee_mode 1
		.amdhsa_fp16_overflow 0
		.amdhsa_workgroup_processor_mode 1
		.amdhsa_memory_ordered 1
		.amdhsa_forward_progress 0
		.amdhsa_shared_vgpr_count 0
		.amdhsa_exception_fp_ieee_invalid_op 0
		.amdhsa_exception_fp_denorm_src 0
		.amdhsa_exception_fp_ieee_div_zero 0
		.amdhsa_exception_fp_ieee_overflow 0
		.amdhsa_exception_fp_ieee_underflow 0
		.amdhsa_exception_fp_ieee_inexact 0
		.amdhsa_exception_int_div_zero 0
	.end_amdhsa_kernel
	.section	.text._Z6kernelI6reduceILN6hipcub20BlockReduceAlgorithmE0EEdLj256ELj4ELj100EEvPKT0_PS4_,"axG",@progbits,_Z6kernelI6reduceILN6hipcub20BlockReduceAlgorithmE0EEdLj256ELj4ELj100EEvPKT0_PS4_,comdat
.Lfunc_end52:
	.size	_Z6kernelI6reduceILN6hipcub20BlockReduceAlgorithmE0EEdLj256ELj4ELj100EEvPKT0_PS4_, .Lfunc_end52-_Z6kernelI6reduceILN6hipcub20BlockReduceAlgorithmE0EEdLj256ELj4ELj100EEvPKT0_PS4_
                                        ; -- End function
	.section	.AMDGPU.csdata,"",@progbits
; Kernel info:
; codeLenInByte = 668
; NumSgprs: 18
; NumVgprs: 18
; ScratchSize: 0
; MemoryBound: 0
; FloatMode: 240
; IeeeMode: 1
; LDSByteSize: 64 bytes/workgroup (compile time only)
; SGPRBlocks: 2
; VGPRBlocks: 2
; NumSGPRsForWavesPerEU: 18
; NumVGPRsForWavesPerEU: 18
; Occupancy: 16
; WaveLimiterHint : 0
; COMPUTE_PGM_RSRC2:SCRATCH_EN: 0
; COMPUTE_PGM_RSRC2:USER_SGPR: 15
; COMPUTE_PGM_RSRC2:TRAP_HANDLER: 0
; COMPUTE_PGM_RSRC2:TGID_X_EN: 1
; COMPUTE_PGM_RSRC2:TGID_Y_EN: 0
; COMPUTE_PGM_RSRC2:TGID_Z_EN: 0
; COMPUTE_PGM_RSRC2:TIDIG_COMP_CNT: 0
	.section	.text._Z6kernelI6reduceILN6hipcub20BlockReduceAlgorithmE0EEdLj256ELj8ELj100EEvPKT0_PS4_,"axG",@progbits,_Z6kernelI6reduceILN6hipcub20BlockReduceAlgorithmE0EEdLj256ELj8ELj100EEvPKT0_PS4_,comdat
	.protected	_Z6kernelI6reduceILN6hipcub20BlockReduceAlgorithmE0EEdLj256ELj8ELj100EEvPKT0_PS4_ ; -- Begin function _Z6kernelI6reduceILN6hipcub20BlockReduceAlgorithmE0EEdLj256ELj8ELj100EEvPKT0_PS4_
	.globl	_Z6kernelI6reduceILN6hipcub20BlockReduceAlgorithmE0EEdLj256ELj8ELj100EEvPKT0_PS4_
	.p2align	8
	.type	_Z6kernelI6reduceILN6hipcub20BlockReduceAlgorithmE0EEdLj256ELj8ELj100EEvPKT0_PS4_,@function
_Z6kernelI6reduceILN6hipcub20BlockReduceAlgorithmE0EEdLj256ELj8ELj100EEvPKT0_PS4_: ; @_Z6kernelI6reduceILN6hipcub20BlockReduceAlgorithmE0EEdLj256ELj8ELj100EEvPKT0_PS4_
; %bb.0:
	s_clause 0x1
	s_load_b32 s5, s[0:1], 0x1c
	s_load_b128 s[0:3], s[0:1], 0x0
	v_mbcnt_lo_u32_b32 v22, -1, 0
	v_mov_b32_e32 v2, 0
	v_lshrrev_b32_e32 v18, 2, v0
	s_mov_b32 s4, s15
	s_delay_alu instid0(VALU_DEP_3) | instskip(NEXT) | instid1(VALU_DEP_2)
	v_and_b32_e32 v19, 7, v22
	v_and_b32_e32 v18, 56, v18
	s_waitcnt lgkmcnt(0)
	s_and_b32 s5, s5, 0xffff
	s_delay_alu instid0(SALU_CYCLE_1) | instskip(NEXT) | instid1(SALU_CYCLE_1)
	s_mul_i32 s5, s15, s5
	v_add_lshl_u32 v1, s5, v0, 3
	s_delay_alu instid0(VALU_DEP_1) | instskip(NEXT) | instid1(VALU_DEP_1)
	v_lshlrev_b64 v[1:2], 3, v[1:2]
	v_add_co_u32 v1, vcc_lo, s0, v1
	s_delay_alu instid0(VALU_DEP_2)
	v_add_co_ci_u32_e32 v2, vcc_lo, s1, v2, vcc_lo
	v_cmp_gt_u32_e64 s1, 6, v19
	v_cmp_eq_u32_e32 vcc_lo, 0, v22
	v_cmp_gt_u32_e64 s0, 32, v0
	s_clause 0x3
	global_load_b128 v[5:8], v[1:2], off offset:48
	global_load_b128 v[9:12], v[1:2], off offset:32
	;; [unrolled: 1-line block ×3, first 2 shown]
	global_load_b128 v[1:4], v[1:2], off
	v_cndmask_b32_e64 v20, 0, 1, s1
	v_cmp_gt_u32_e64 s1, 4, v19
	s_delay_alu instid0(VALU_DEP_2) | instskip(NEXT) | instid1(VALU_DEP_2)
	v_dual_mov_b32 v17, 0x7c :: v_dual_lshlrev_b32 v24, 1, v20
	v_cndmask_b32_e64 v21, 0, 1, s1
	v_cmp_ne_u32_e64 s1, 7, v19
	v_lshlrev_b32_e32 v19, 3, v19
	s_delay_alu instid0(VALU_DEP_3) | instskip(NEXT) | instid1(VALU_DEP_3)
	v_lshlrev_b32_e32 v25, 2, v21
	v_add_co_ci_u32_e64 v23, s1, 0, v22, s1
	v_add_lshl_u32 v21, v24, v22, 2
	s_movk_i32 s1, 0x64
	s_delay_alu instid0(VALU_DEP_3) | instskip(NEXT) | instid1(VALU_DEP_3)
	v_add_lshl_u32 v22, v25, v22, 2
	v_lshlrev_b32_e32 v20, 2, v23
	s_branch .LBB53_2
.LBB53_1:                               ;   in Loop: Header=BB53_2 Depth=1
	s_or_b32 exec_lo, exec_lo, s5
	s_add_i32 s1, s1, -1
	s_delay_alu instid0(SALU_CYCLE_1)
	s_cmp_eq_u32 s1, 0
	s_cbranch_scc1 .LBB53_6
.LBB53_2:                               ; =>This Inner Loop Header: Depth=1
	s_waitcnt vmcnt(0)
	s_delay_alu instid0(VALU_DEP_1) | instskip(NEXT) | instid1(VALU_DEP_1)
	v_add_f64 v[1:2], v[3:4], v[1:2]
	v_add_f64 v[1:2], v[13:14], v[1:2]
	s_delay_alu instid0(VALU_DEP_1) | instskip(NEXT) | instid1(VALU_DEP_1)
	v_add_f64 v[1:2], v[15:16], v[1:2]
	v_add_f64 v[1:2], v[9:10], v[1:2]
	;; [unrolled: 3-line block ×3, first 2 shown]
	s_delay_alu instid0(VALU_DEP_1) | instskip(NEXT) | instid1(VALU_DEP_1)
	v_add_f64 v[1:2], v[7:8], v[1:2]
	v_mov_b32_dpp v23, v1 quad_perm:[1,0,3,2] row_mask:0xf bank_mask:0xf
	s_delay_alu instid0(VALU_DEP_2) | instskip(NEXT) | instid1(VALU_DEP_1)
	v_mov_b32_dpp v24, v2 quad_perm:[1,0,3,2] row_mask:0xf bank_mask:0xf
	v_add_f64 v[1:2], v[1:2], v[23:24]
	s_delay_alu instid0(VALU_DEP_1) | instskip(NEXT) | instid1(VALU_DEP_2)
	v_mov_b32_dpp v23, v1 quad_perm:[2,3,0,1] row_mask:0xf bank_mask:0xf
	v_mov_b32_dpp v24, v2 quad_perm:[2,3,0,1] row_mask:0xf bank_mask:0xf
	s_delay_alu instid0(VALU_DEP_1) | instskip(NEXT) | instid1(VALU_DEP_1)
	v_add_f64 v[1:2], v[1:2], v[23:24]
	v_mov_b32_dpp v23, v1 row_ror:4 row_mask:0xf bank_mask:0xf
	s_delay_alu instid0(VALU_DEP_2) | instskip(NEXT) | instid1(VALU_DEP_1)
	v_mov_b32_dpp v24, v2 row_ror:4 row_mask:0xf bank_mask:0xf
	v_add_f64 v[1:2], v[1:2], v[23:24]
	s_delay_alu instid0(VALU_DEP_1) | instskip(NEXT) | instid1(VALU_DEP_2)
	v_mov_b32_dpp v23, v1 row_ror:8 row_mask:0xf bank_mask:0xf
	v_mov_b32_dpp v24, v2 row_ror:8 row_mask:0xf bank_mask:0xf
	s_delay_alu instid0(VALU_DEP_1)
	v_add_f64 v[1:2], v[1:2], v[23:24]
	ds_swizzle_b32 v23, v1 offset:swizzle(BROADCAST,32,15)
	ds_swizzle_b32 v24, v2 offset:swizzle(BROADCAST,32,15)
	s_waitcnt lgkmcnt(0)
	v_add_f64 v[1:2], v[1:2], v[23:24]
	ds_bpermute_b32 v1, v17, v1
	ds_bpermute_b32 v2, v17, v2
	s_and_saveexec_b32 s5, vcc_lo
	s_cbranch_execz .LBB53_4
; %bb.3:                                ;   in Loop: Header=BB53_2 Depth=1
	s_waitcnt lgkmcnt(0)
	ds_store_b64 v18, v[1:2]
.LBB53_4:                               ;   in Loop: Header=BB53_2 Depth=1
	s_or_b32 exec_lo, exec_lo, s5
	s_waitcnt lgkmcnt(0)
	s_barrier
	buffer_gl0_inv
	s_and_saveexec_b32 s5, s0
	s_cbranch_execz .LBB53_1
; %bb.5:                                ;   in Loop: Header=BB53_2 Depth=1
	ds_load_b64 v[1:2], v19
	s_waitcnt lgkmcnt(0)
	ds_bpermute_b32 v23, v20, v1
	ds_bpermute_b32 v24, v20, v2
	s_waitcnt lgkmcnt(0)
	v_add_f64 v[1:2], v[1:2], v[23:24]
	ds_bpermute_b32 v23, v21, v1
	ds_bpermute_b32 v24, v21, v2
	s_waitcnt lgkmcnt(0)
	v_add_f64 v[1:2], v[1:2], v[23:24]
	;; [unrolled: 4-line block ×3, first 2 shown]
	s_branch .LBB53_1
.LBB53_6:
	s_mov_b32 s5, 0
	s_mov_b32 s0, exec_lo
	v_cmpx_eq_u32_e32 0, v0
	s_cbranch_execz .LBB53_8
; %bb.7:
	s_lshl_b64 s[0:1], s[4:5], 3
	v_mov_b32_e32 v0, 0
	s_add_u32 s0, s2, s0
	s_addc_u32 s1, s3, s1
	global_store_b64 v0, v[1:2], s[0:1]
.LBB53_8:
	s_nop 0
	s_sendmsg sendmsg(MSG_DEALLOC_VGPRS)
	s_endpgm
	.section	.rodata,"a",@progbits
	.p2align	6, 0x0
	.amdhsa_kernel _Z6kernelI6reduceILN6hipcub20BlockReduceAlgorithmE0EEdLj256ELj8ELj100EEvPKT0_PS4_
		.amdhsa_group_segment_fixed_size 64
		.amdhsa_private_segment_fixed_size 0
		.amdhsa_kernarg_size 272
		.amdhsa_user_sgpr_count 15
		.amdhsa_user_sgpr_dispatch_ptr 0
		.amdhsa_user_sgpr_queue_ptr 0
		.amdhsa_user_sgpr_kernarg_segment_ptr 1
		.amdhsa_user_sgpr_dispatch_id 0
		.amdhsa_user_sgpr_private_segment_size 0
		.amdhsa_wavefront_size32 1
		.amdhsa_uses_dynamic_stack 0
		.amdhsa_enable_private_segment 0
		.amdhsa_system_sgpr_workgroup_id_x 1
		.amdhsa_system_sgpr_workgroup_id_y 0
		.amdhsa_system_sgpr_workgroup_id_z 0
		.amdhsa_system_sgpr_workgroup_info 0
		.amdhsa_system_vgpr_workitem_id 0
		.amdhsa_next_free_vgpr 26
		.amdhsa_next_free_sgpr 16
		.amdhsa_reserve_vcc 1
		.amdhsa_float_round_mode_32 0
		.amdhsa_float_round_mode_16_64 0
		.amdhsa_float_denorm_mode_32 3
		.amdhsa_float_denorm_mode_16_64 3
		.amdhsa_dx10_clamp 1
		.amdhsa_ieee_mode 1
		.amdhsa_fp16_overflow 0
		.amdhsa_workgroup_processor_mode 1
		.amdhsa_memory_ordered 1
		.amdhsa_forward_progress 0
		.amdhsa_shared_vgpr_count 0
		.amdhsa_exception_fp_ieee_invalid_op 0
		.amdhsa_exception_fp_denorm_src 0
		.amdhsa_exception_fp_ieee_div_zero 0
		.amdhsa_exception_fp_ieee_overflow 0
		.amdhsa_exception_fp_ieee_underflow 0
		.amdhsa_exception_fp_ieee_inexact 0
		.amdhsa_exception_int_div_zero 0
	.end_amdhsa_kernel
	.section	.text._Z6kernelI6reduceILN6hipcub20BlockReduceAlgorithmE0EEdLj256ELj8ELj100EEvPKT0_PS4_,"axG",@progbits,_Z6kernelI6reduceILN6hipcub20BlockReduceAlgorithmE0EEdLj256ELj8ELj100EEvPKT0_PS4_,comdat
.Lfunc_end53:
	.size	_Z6kernelI6reduceILN6hipcub20BlockReduceAlgorithmE0EEdLj256ELj8ELj100EEvPKT0_PS4_, .Lfunc_end53-_Z6kernelI6reduceILN6hipcub20BlockReduceAlgorithmE0EEdLj256ELj8ELj100EEvPKT0_PS4_
                                        ; -- End function
	.section	.AMDGPU.csdata,"",@progbits
; Kernel info:
; codeLenInByte = 724
; NumSgprs: 18
; NumVgprs: 26
; ScratchSize: 0
; MemoryBound: 0
; FloatMode: 240
; IeeeMode: 1
; LDSByteSize: 64 bytes/workgroup (compile time only)
; SGPRBlocks: 2
; VGPRBlocks: 3
; NumSGPRsForWavesPerEU: 18
; NumVGPRsForWavesPerEU: 26
; Occupancy: 16
; WaveLimiterHint : 0
; COMPUTE_PGM_RSRC2:SCRATCH_EN: 0
; COMPUTE_PGM_RSRC2:USER_SGPR: 15
; COMPUTE_PGM_RSRC2:TRAP_HANDLER: 0
; COMPUTE_PGM_RSRC2:TGID_X_EN: 1
; COMPUTE_PGM_RSRC2:TGID_Y_EN: 0
; COMPUTE_PGM_RSRC2:TGID_Z_EN: 0
; COMPUTE_PGM_RSRC2:TIDIG_COMP_CNT: 0
	.section	.text._Z6kernelI6reduceILN6hipcub20BlockReduceAlgorithmE0EEdLj256ELj11ELj100EEvPKT0_PS4_,"axG",@progbits,_Z6kernelI6reduceILN6hipcub20BlockReduceAlgorithmE0EEdLj256ELj11ELj100EEvPKT0_PS4_,comdat
	.protected	_Z6kernelI6reduceILN6hipcub20BlockReduceAlgorithmE0EEdLj256ELj11ELj100EEvPKT0_PS4_ ; -- Begin function _Z6kernelI6reduceILN6hipcub20BlockReduceAlgorithmE0EEdLj256ELj11ELj100EEvPKT0_PS4_
	.globl	_Z6kernelI6reduceILN6hipcub20BlockReduceAlgorithmE0EEdLj256ELj11ELj100EEvPKT0_PS4_
	.p2align	8
	.type	_Z6kernelI6reduceILN6hipcub20BlockReduceAlgorithmE0EEdLj256ELj11ELj100EEvPKT0_PS4_,@function
_Z6kernelI6reduceILN6hipcub20BlockReduceAlgorithmE0EEdLj256ELj11ELj100EEvPKT0_PS4_: ; @_Z6kernelI6reduceILN6hipcub20BlockReduceAlgorithmE0EEdLj256ELj11ELj100EEvPKT0_PS4_
; %bb.0:
	s_load_b32 s2, s[0:1], 0x1c
	s_mov_b32 s4, s15
	v_mbcnt_lo_u32_b32 v28, -1, 0
	s_delay_alu instid0(VALU_DEP_1) | instskip(SKIP_2) | instid1(SALU_CYCLE_1)
	v_and_b32_e32 v25, 7, v28
	s_waitcnt lgkmcnt(0)
	s_and_b32 s2, s2, 0xffff
	v_mad_u64_u32 v[1:2], null, s4, s2, v[0:1]
	s_load_b128 s[0:3], s[0:1], 0x0
	s_delay_alu instid0(VALU_DEP_1) | instskip(NEXT) | instid1(VALU_DEP_1)
	v_mul_lo_u32 v9, v1, 11
	v_dual_mov_b32 v10, 0 :: v_dual_add_nc_u32 v1, 1, v9
	s_delay_alu instid0(VALU_DEP_1) | instskip(SKIP_2) | instid1(VALU_DEP_3)
	v_dual_mov_b32 v2, v10 :: v_dual_add_nc_u32 v3, 2, v9
	v_lshlrev_b64 v[17:18], 3, v[9:10]
	v_dual_mov_b32 v4, v10 :: v_dual_add_nc_u32 v5, 3, v9
	v_lshlrev_b64 v[1:2], 3, v[1:2]
	v_dual_mov_b32 v6, v10 :: v_dual_add_nc_u32 v7, 4, v9
	s_delay_alu instid0(VALU_DEP_3)
	v_lshlrev_b64 v[3:4], 3, v[3:4]
	s_waitcnt lgkmcnt(0)
	v_add_co_u32 v17, vcc_lo, s0, v17
	v_dual_mov_b32 v8, v10 :: v_dual_add_nc_u32 v11, 5, v9
	v_add_co_ci_u32_e32 v18, vcc_lo, s1, v18, vcc_lo
	v_lshlrev_b64 v[5:6], 3, v[5:6]
	v_add_co_u32 v1, vcc_lo, s0, v1
	v_dual_mov_b32 v12, v10 :: v_dual_add_nc_u32 v13, 6, v9
	v_add_co_ci_u32_e32 v2, vcc_lo, s1, v2, vcc_lo
	v_lshlrev_b64 v[7:8], 3, v[7:8]
	v_add_co_u32 v3, vcc_lo, s0, v3
	v_dual_mov_b32 v14, v10 :: v_dual_add_nc_u32 v15, 7, v9
	v_add_co_ci_u32_e32 v4, vcc_lo, s1, v4, vcc_lo
	v_add_co_u32 v5, vcc_lo, s0, v5
	v_lshlrev_b64 v[11:12], 3, v[11:12]
	v_mov_b32_e32 v16, v10
	v_add_co_ci_u32_e32 v6, vcc_lo, s1, v6, vcc_lo
	v_add_co_u32 v19, vcc_lo, s0, v7
	v_lshlrev_b64 v[13:14], 3, v[13:14]
	v_add_co_ci_u32_e32 v20, vcc_lo, s1, v8, vcc_lo
	s_clause 0x3
	global_load_b64 v[7:8], v[17:18], off
	global_load_b64 v[1:2], v[1:2], off
	global_load_b64 v[3:4], v[3:4], off
	global_load_b64 v[5:6], v[5:6], off
	v_dual_mov_b32 v18, v10 :: v_dual_add_nc_u32 v17, 8, v9
	v_add_nc_u32_e32 v21, 9, v9
	v_add_co_u32 v11, vcc_lo, s0, v11
	v_lshlrev_b64 v[15:16], 3, v[15:16]
	v_dual_mov_b32 v22, v10 :: v_dual_add_nc_u32 v9, 10, v9
	v_add_co_ci_u32_e32 v12, vcc_lo, s1, v12, vcc_lo
	v_add_co_u32 v13, vcc_lo, s0, v13
	v_lshlrev_b64 v[17:18], 3, v[17:18]
	v_add_co_ci_u32_e32 v14, vcc_lo, s1, v14, vcc_lo
	v_add_co_u32 v15, vcc_lo, s0, v15
	v_lshlrev_b64 v[21:22], 3, v[21:22]
	;; [unrolled: 3-line block ×3, first 2 shown]
	v_add_co_ci_u32_e32 v18, vcc_lo, s1, v18, vcc_lo
	v_add_co_u32 v21, vcc_lo, s0, v21
	v_add_co_ci_u32_e32 v22, vcc_lo, s1, v22, vcc_lo
	s_delay_alu instid0(VALU_DEP_4)
	v_add_co_u32 v23, vcc_lo, s0, v9
	v_add_co_ci_u32_e32 v24, vcc_lo, s1, v10, vcc_lo
	s_clause 0x6
	global_load_b64 v[9:10], v[19:20], off
	global_load_b64 v[11:12], v[11:12], off
	global_load_b64 v[13:14], v[13:14], off
	global_load_b64 v[15:16], v[15:16], off
	global_load_b64 v[17:18], v[17:18], off
	global_load_b64 v[19:20], v[21:22], off
	global_load_b64 v[21:22], v[23:24], off
	v_cmp_gt_u32_e64 s1, 6, v25
	v_lshrrev_b32_e32 v24, 2, v0
	v_cmp_eq_u32_e32 vcc_lo, 0, v28
	v_cmp_gt_u32_e64 s0, 32, v0
	s_delay_alu instid0(VALU_DEP_4) | instskip(SKIP_2) | instid1(VALU_DEP_3)
	v_cndmask_b32_e64 v26, 0, 1, s1
	v_cmp_gt_u32_e64 s1, 4, v25
	v_dual_mov_b32 v23, 0x7c :: v_dual_and_b32 v24, 56, v24
	v_lshlrev_b32_e32 v30, 1, v26
	s_delay_alu instid0(VALU_DEP_3) | instskip(SKIP_2) | instid1(VALU_DEP_3)
	v_cndmask_b32_e64 v27, 0, 1, s1
	v_cmp_ne_u32_e64 s1, 7, v25
	v_lshlrev_b32_e32 v25, 3, v25
	v_lshlrev_b32_e32 v31, 2, v27
	s_delay_alu instid0(VALU_DEP_3) | instskip(SKIP_2) | instid1(VALU_DEP_3)
	v_add_co_ci_u32_e64 v29, s1, 0, v28, s1
	v_add_lshl_u32 v27, v30, v28, 2
	s_movk_i32 s1, 0x64
	v_add_lshl_u32 v28, v31, v28, 2
	s_delay_alu instid0(VALU_DEP_3)
	v_lshlrev_b32_e32 v26, 2, v29
	s_branch .LBB54_2
.LBB54_1:                               ;   in Loop: Header=BB54_2 Depth=1
	s_or_b32 exec_lo, exec_lo, s5
	s_add_i32 s1, s1, -1
	s_delay_alu instid0(SALU_CYCLE_1)
	s_cmp_eq_u32 s1, 0
	s_cbranch_scc1 .LBB54_6
.LBB54_2:                               ; =>This Inner Loop Header: Depth=1
	s_waitcnt vmcnt(9)
	s_delay_alu instid0(VALU_DEP_1) | instskip(SKIP_1) | instid1(VALU_DEP_1)
	v_add_f64 v[7:8], v[1:2], v[7:8]
	s_waitcnt vmcnt(8)
	v_add_f64 v[7:8], v[3:4], v[7:8]
	s_waitcnt vmcnt(7)
	s_delay_alu instid0(VALU_DEP_1) | instskip(SKIP_1) | instid1(VALU_DEP_1)
	v_add_f64 v[7:8], v[5:6], v[7:8]
	s_waitcnt vmcnt(6)
	v_add_f64 v[7:8], v[9:10], v[7:8]
	;; [unrolled: 5-line block ×5, first 2 shown]
	s_delay_alu instid0(VALU_DEP_1) | instskip(NEXT) | instid1(VALU_DEP_2)
	v_mov_b32_dpp v29, v7 quad_perm:[1,0,3,2] row_mask:0xf bank_mask:0xf
	v_mov_b32_dpp v30, v8 quad_perm:[1,0,3,2] row_mask:0xf bank_mask:0xf
	s_delay_alu instid0(VALU_DEP_1) | instskip(NEXT) | instid1(VALU_DEP_1)
	v_add_f64 v[7:8], v[7:8], v[29:30]
	v_mov_b32_dpp v29, v7 quad_perm:[2,3,0,1] row_mask:0xf bank_mask:0xf
	s_delay_alu instid0(VALU_DEP_2) | instskip(NEXT) | instid1(VALU_DEP_1)
	v_mov_b32_dpp v30, v8 quad_perm:[2,3,0,1] row_mask:0xf bank_mask:0xf
	v_add_f64 v[7:8], v[7:8], v[29:30]
	s_delay_alu instid0(VALU_DEP_1) | instskip(NEXT) | instid1(VALU_DEP_2)
	v_mov_b32_dpp v29, v7 row_ror:4 row_mask:0xf bank_mask:0xf
	v_mov_b32_dpp v30, v8 row_ror:4 row_mask:0xf bank_mask:0xf
	s_delay_alu instid0(VALU_DEP_1) | instskip(NEXT) | instid1(VALU_DEP_1)
	v_add_f64 v[7:8], v[7:8], v[29:30]
	v_mov_b32_dpp v29, v7 row_ror:8 row_mask:0xf bank_mask:0xf
	s_delay_alu instid0(VALU_DEP_2) | instskip(NEXT) | instid1(VALU_DEP_1)
	v_mov_b32_dpp v30, v8 row_ror:8 row_mask:0xf bank_mask:0xf
	v_add_f64 v[7:8], v[7:8], v[29:30]
	ds_swizzle_b32 v29, v7 offset:swizzle(BROADCAST,32,15)
	ds_swizzle_b32 v30, v8 offset:swizzle(BROADCAST,32,15)
	s_waitcnt lgkmcnt(0)
	v_add_f64 v[7:8], v[7:8], v[29:30]
	ds_bpermute_b32 v7, v23, v7
	ds_bpermute_b32 v8, v23, v8
	s_and_saveexec_b32 s5, vcc_lo
	s_cbranch_execz .LBB54_4
; %bb.3:                                ;   in Loop: Header=BB54_2 Depth=1
	s_waitcnt lgkmcnt(0)
	ds_store_b64 v24, v[7:8]
.LBB54_4:                               ;   in Loop: Header=BB54_2 Depth=1
	s_or_b32 exec_lo, exec_lo, s5
	s_waitcnt lgkmcnt(0)
	s_barrier
	buffer_gl0_inv
	s_and_saveexec_b32 s5, s0
	s_cbranch_execz .LBB54_1
; %bb.5:                                ;   in Loop: Header=BB54_2 Depth=1
	ds_load_b64 v[7:8], v25
	s_waitcnt lgkmcnt(0)
	ds_bpermute_b32 v29, v26, v7
	ds_bpermute_b32 v30, v26, v8
	s_waitcnt lgkmcnt(0)
	v_add_f64 v[7:8], v[7:8], v[29:30]
	ds_bpermute_b32 v29, v27, v7
	ds_bpermute_b32 v30, v27, v8
	s_waitcnt lgkmcnt(0)
	v_add_f64 v[7:8], v[7:8], v[29:30]
	;; [unrolled: 4-line block ×3, first 2 shown]
	s_branch .LBB54_1
.LBB54_6:
	s_mov_b32 s5, 0
	s_mov_b32 s0, exec_lo
	v_cmpx_eq_u32_e32 0, v0
	s_cbranch_execz .LBB54_8
; %bb.7:
	s_lshl_b64 s[0:1], s[4:5], 3
	v_mov_b32_e32 v0, 0
	s_add_u32 s0, s2, s0
	s_addc_u32 s1, s3, s1
	global_store_b64 v0, v[7:8], s[0:1]
.LBB54_8:
	s_nop 0
	s_sendmsg sendmsg(MSG_DEALLOC_VGPRS)
	s_endpgm
	.section	.rodata,"a",@progbits
	.p2align	6, 0x0
	.amdhsa_kernel _Z6kernelI6reduceILN6hipcub20BlockReduceAlgorithmE0EEdLj256ELj11ELj100EEvPKT0_PS4_
		.amdhsa_group_segment_fixed_size 64
		.amdhsa_private_segment_fixed_size 0
		.amdhsa_kernarg_size 272
		.amdhsa_user_sgpr_count 15
		.amdhsa_user_sgpr_dispatch_ptr 0
		.amdhsa_user_sgpr_queue_ptr 0
		.amdhsa_user_sgpr_kernarg_segment_ptr 1
		.amdhsa_user_sgpr_dispatch_id 0
		.amdhsa_user_sgpr_private_segment_size 0
		.amdhsa_wavefront_size32 1
		.amdhsa_uses_dynamic_stack 0
		.amdhsa_enable_private_segment 0
		.amdhsa_system_sgpr_workgroup_id_x 1
		.amdhsa_system_sgpr_workgroup_id_y 0
		.amdhsa_system_sgpr_workgroup_id_z 0
		.amdhsa_system_sgpr_workgroup_info 0
		.amdhsa_system_vgpr_workitem_id 0
		.amdhsa_next_free_vgpr 32
		.amdhsa_next_free_sgpr 16
		.amdhsa_reserve_vcc 1
		.amdhsa_float_round_mode_32 0
		.amdhsa_float_round_mode_16_64 0
		.amdhsa_float_denorm_mode_32 3
		.amdhsa_float_denorm_mode_16_64 3
		.amdhsa_dx10_clamp 1
		.amdhsa_ieee_mode 1
		.amdhsa_fp16_overflow 0
		.amdhsa_workgroup_processor_mode 1
		.amdhsa_memory_ordered 1
		.amdhsa_forward_progress 0
		.amdhsa_shared_vgpr_count 0
		.amdhsa_exception_fp_ieee_invalid_op 0
		.amdhsa_exception_fp_denorm_src 0
		.amdhsa_exception_fp_ieee_div_zero 0
		.amdhsa_exception_fp_ieee_overflow 0
		.amdhsa_exception_fp_ieee_underflow 0
		.amdhsa_exception_fp_ieee_inexact 0
		.amdhsa_exception_int_div_zero 0
	.end_amdhsa_kernel
	.section	.text._Z6kernelI6reduceILN6hipcub20BlockReduceAlgorithmE0EEdLj256ELj11ELj100EEvPKT0_PS4_,"axG",@progbits,_Z6kernelI6reduceILN6hipcub20BlockReduceAlgorithmE0EEdLj256ELj11ELj100EEvPKT0_PS4_,comdat
.Lfunc_end54:
	.size	_Z6kernelI6reduceILN6hipcub20BlockReduceAlgorithmE0EEdLj256ELj11ELj100EEvPKT0_PS4_, .Lfunc_end54-_Z6kernelI6reduceILN6hipcub20BlockReduceAlgorithmE0EEdLj256ELj11ELj100EEvPKT0_PS4_
                                        ; -- End function
	.section	.AMDGPU.csdata,"",@progbits
; Kernel info:
; codeLenInByte = 1136
; NumSgprs: 18
; NumVgprs: 32
; ScratchSize: 0
; MemoryBound: 0
; FloatMode: 240
; IeeeMode: 1
; LDSByteSize: 64 bytes/workgroup (compile time only)
; SGPRBlocks: 2
; VGPRBlocks: 3
; NumSGPRsForWavesPerEU: 18
; NumVGPRsForWavesPerEU: 32
; Occupancy: 16
; WaveLimiterHint : 0
; COMPUTE_PGM_RSRC2:SCRATCH_EN: 0
; COMPUTE_PGM_RSRC2:USER_SGPR: 15
; COMPUTE_PGM_RSRC2:TRAP_HANDLER: 0
; COMPUTE_PGM_RSRC2:TGID_X_EN: 1
; COMPUTE_PGM_RSRC2:TGID_Y_EN: 0
; COMPUTE_PGM_RSRC2:TGID_Z_EN: 0
; COMPUTE_PGM_RSRC2:TIDIG_COMP_CNT: 0
	.section	.text._Z6kernelI6reduceILN6hipcub20BlockReduceAlgorithmE0EEdLj256ELj16ELj100EEvPKT0_PS4_,"axG",@progbits,_Z6kernelI6reduceILN6hipcub20BlockReduceAlgorithmE0EEdLj256ELj16ELj100EEvPKT0_PS4_,comdat
	.protected	_Z6kernelI6reduceILN6hipcub20BlockReduceAlgorithmE0EEdLj256ELj16ELj100EEvPKT0_PS4_ ; -- Begin function _Z6kernelI6reduceILN6hipcub20BlockReduceAlgorithmE0EEdLj256ELj16ELj100EEvPKT0_PS4_
	.globl	_Z6kernelI6reduceILN6hipcub20BlockReduceAlgorithmE0EEdLj256ELj16ELj100EEvPKT0_PS4_
	.p2align	8
	.type	_Z6kernelI6reduceILN6hipcub20BlockReduceAlgorithmE0EEdLj256ELj16ELj100EEvPKT0_PS4_,@function
_Z6kernelI6reduceILN6hipcub20BlockReduceAlgorithmE0EEdLj256ELj16ELj100EEvPKT0_PS4_: ; @_Z6kernelI6reduceILN6hipcub20BlockReduceAlgorithmE0EEdLj256ELj16ELj100EEvPKT0_PS4_
; %bb.0:
	s_clause 0x1
	s_load_b32 s5, s[0:1], 0x1c
	s_load_b128 s[0:3], s[0:1], 0x0
	v_mbcnt_lo_u32_b32 v38, -1, 0
	v_mov_b32_e32 v2, 0
	v_lshrrev_b32_e32 v34, 2, v0
	s_mov_b32 s4, s15
	s_delay_alu instid0(VALU_DEP_3) | instskip(NEXT) | instid1(VALU_DEP_2)
	v_and_b32_e32 v35, 7, v38
	v_and_b32_e32 v34, 56, v34
	s_waitcnt lgkmcnt(0)
	s_and_b32 s5, s5, 0xffff
	s_delay_alu instid0(SALU_CYCLE_1) | instskip(NEXT) | instid1(SALU_CYCLE_1)
	s_mul_i32 s5, s15, s5
	v_add_lshl_u32 v1, s5, v0, 4
	s_delay_alu instid0(VALU_DEP_1) | instskip(NEXT) | instid1(VALU_DEP_1)
	v_lshlrev_b64 v[1:2], 3, v[1:2]
	v_add_co_u32 v29, vcc_lo, s0, v1
	s_delay_alu instid0(VALU_DEP_2)
	v_add_co_ci_u32_e32 v30, vcc_lo, s1, v2, vcc_lo
	v_cmp_gt_u32_e64 s1, 6, v35
	v_cmp_eq_u32_e32 vcc_lo, 0, v38
	v_cmp_gt_u32_e64 s0, 32, v0
	s_clause 0x7
	global_load_b128 v[5:8], v[29:30], off offset:48
	global_load_b128 v[9:12], v[29:30], off offset:32
	;; [unrolled: 1-line block ×3, first 2 shown]
	global_load_b128 v[1:4], v[29:30], off
	global_load_b128 v[17:20], v[29:30], off offset:112
	global_load_b128 v[21:24], v[29:30], off offset:96
	;; [unrolled: 1-line block ×4, first 2 shown]
	v_cndmask_b32_e64 v36, 0, 1, s1
	v_cmp_gt_u32_e64 s1, 4, v35
	s_delay_alu instid0(VALU_DEP_2) | instskip(NEXT) | instid1(VALU_DEP_2)
	v_dual_mov_b32 v33, 0x7c :: v_dual_lshlrev_b32 v40, 1, v36
	v_cndmask_b32_e64 v37, 0, 1, s1
	v_cmp_ne_u32_e64 s1, 7, v35
	v_lshlrev_b32_e32 v35, 3, v35
	s_delay_alu instid0(VALU_DEP_3) | instskip(NEXT) | instid1(VALU_DEP_3)
	v_lshlrev_b32_e32 v41, 2, v37
	v_add_co_ci_u32_e64 v39, s1, 0, v38, s1
	v_add_lshl_u32 v37, v40, v38, 2
	s_movk_i32 s1, 0x64
	s_delay_alu instid0(VALU_DEP_3) | instskip(NEXT) | instid1(VALU_DEP_3)
	v_add_lshl_u32 v38, v41, v38, 2
	v_lshlrev_b32_e32 v36, 2, v39
	s_branch .LBB55_2
.LBB55_1:                               ;   in Loop: Header=BB55_2 Depth=1
	s_or_b32 exec_lo, exec_lo, s5
	s_add_i32 s1, s1, -1
	s_delay_alu instid0(SALU_CYCLE_1)
	s_cmp_eq_u32 s1, 0
	s_cbranch_scc1 .LBB55_6
.LBB55_2:                               ; =>This Inner Loop Header: Depth=1
	s_waitcnt vmcnt(4)
	s_delay_alu instid0(VALU_DEP_1) | instskip(NEXT) | instid1(VALU_DEP_1)
	v_add_f64 v[1:2], v[3:4], v[1:2]
	v_add_f64 v[1:2], v[13:14], v[1:2]
	s_delay_alu instid0(VALU_DEP_1) | instskip(NEXT) | instid1(VALU_DEP_1)
	v_add_f64 v[1:2], v[15:16], v[1:2]
	v_add_f64 v[1:2], v[9:10], v[1:2]
	;; [unrolled: 3-line block ×3, first 2 shown]
	s_delay_alu instid0(VALU_DEP_1) | instskip(SKIP_1) | instid1(VALU_DEP_1)
	v_add_f64 v[1:2], v[7:8], v[1:2]
	s_waitcnt vmcnt(0)
	v_add_f64 v[1:2], v[29:30], v[1:2]
	s_delay_alu instid0(VALU_DEP_1) | instskip(NEXT) | instid1(VALU_DEP_1)
	v_add_f64 v[1:2], v[31:32], v[1:2]
	v_add_f64 v[1:2], v[25:26], v[1:2]
	s_delay_alu instid0(VALU_DEP_1) | instskip(NEXT) | instid1(VALU_DEP_1)
	v_add_f64 v[1:2], v[27:28], v[1:2]
	;; [unrolled: 3-line block ×4, first 2 shown]
	v_mov_b32_dpp v39, v1 quad_perm:[1,0,3,2] row_mask:0xf bank_mask:0xf
	s_delay_alu instid0(VALU_DEP_2) | instskip(NEXT) | instid1(VALU_DEP_1)
	v_mov_b32_dpp v40, v2 quad_perm:[1,0,3,2] row_mask:0xf bank_mask:0xf
	v_add_f64 v[1:2], v[1:2], v[39:40]
	s_delay_alu instid0(VALU_DEP_1) | instskip(NEXT) | instid1(VALU_DEP_2)
	v_mov_b32_dpp v39, v1 quad_perm:[2,3,0,1] row_mask:0xf bank_mask:0xf
	v_mov_b32_dpp v40, v2 quad_perm:[2,3,0,1] row_mask:0xf bank_mask:0xf
	s_delay_alu instid0(VALU_DEP_1) | instskip(NEXT) | instid1(VALU_DEP_1)
	v_add_f64 v[1:2], v[1:2], v[39:40]
	v_mov_b32_dpp v39, v1 row_ror:4 row_mask:0xf bank_mask:0xf
	s_delay_alu instid0(VALU_DEP_2) | instskip(NEXT) | instid1(VALU_DEP_1)
	v_mov_b32_dpp v40, v2 row_ror:4 row_mask:0xf bank_mask:0xf
	v_add_f64 v[1:2], v[1:2], v[39:40]
	s_delay_alu instid0(VALU_DEP_1) | instskip(NEXT) | instid1(VALU_DEP_2)
	v_mov_b32_dpp v39, v1 row_ror:8 row_mask:0xf bank_mask:0xf
	v_mov_b32_dpp v40, v2 row_ror:8 row_mask:0xf bank_mask:0xf
	s_delay_alu instid0(VALU_DEP_1)
	v_add_f64 v[1:2], v[1:2], v[39:40]
	ds_swizzle_b32 v39, v1 offset:swizzle(BROADCAST,32,15)
	ds_swizzle_b32 v40, v2 offset:swizzle(BROADCAST,32,15)
	s_waitcnt lgkmcnt(0)
	v_add_f64 v[1:2], v[1:2], v[39:40]
	ds_bpermute_b32 v1, v33, v1
	ds_bpermute_b32 v2, v33, v2
	s_and_saveexec_b32 s5, vcc_lo
	s_cbranch_execz .LBB55_4
; %bb.3:                                ;   in Loop: Header=BB55_2 Depth=1
	s_waitcnt lgkmcnt(0)
	ds_store_b64 v34, v[1:2]
.LBB55_4:                               ;   in Loop: Header=BB55_2 Depth=1
	s_or_b32 exec_lo, exec_lo, s5
	s_waitcnt lgkmcnt(0)
	s_barrier
	buffer_gl0_inv
	s_and_saveexec_b32 s5, s0
	s_cbranch_execz .LBB55_1
; %bb.5:                                ;   in Loop: Header=BB55_2 Depth=1
	ds_load_b64 v[1:2], v35
	s_waitcnt lgkmcnt(0)
	ds_bpermute_b32 v39, v36, v1
	ds_bpermute_b32 v40, v36, v2
	s_waitcnt lgkmcnt(0)
	v_add_f64 v[1:2], v[1:2], v[39:40]
	ds_bpermute_b32 v39, v37, v1
	ds_bpermute_b32 v40, v37, v2
	s_waitcnt lgkmcnt(0)
	v_add_f64 v[1:2], v[1:2], v[39:40]
	;; [unrolled: 4-line block ×3, first 2 shown]
	s_branch .LBB55_1
.LBB55_6:
	s_mov_b32 s5, 0
	s_mov_b32 s0, exec_lo
	v_cmpx_eq_u32_e32 0, v0
	s_cbranch_execz .LBB55_8
; %bb.7:
	s_lshl_b64 s[0:1], s[4:5], 3
	v_mov_b32_e32 v0, 0
	s_add_u32 s0, s2, s0
	s_addc_u32 s1, s3, s1
	global_store_b64 v0, v[1:2], s[0:1]
.LBB55_8:
	s_nop 0
	s_sendmsg sendmsg(MSG_DEALLOC_VGPRS)
	s_endpgm
	.section	.rodata,"a",@progbits
	.p2align	6, 0x0
	.amdhsa_kernel _Z6kernelI6reduceILN6hipcub20BlockReduceAlgorithmE0EEdLj256ELj16ELj100EEvPKT0_PS4_
		.amdhsa_group_segment_fixed_size 64
		.amdhsa_private_segment_fixed_size 0
		.amdhsa_kernarg_size 272
		.amdhsa_user_sgpr_count 15
		.amdhsa_user_sgpr_dispatch_ptr 0
		.amdhsa_user_sgpr_queue_ptr 0
		.amdhsa_user_sgpr_kernarg_segment_ptr 1
		.amdhsa_user_sgpr_dispatch_id 0
		.amdhsa_user_sgpr_private_segment_size 0
		.amdhsa_wavefront_size32 1
		.amdhsa_uses_dynamic_stack 0
		.amdhsa_enable_private_segment 0
		.amdhsa_system_sgpr_workgroup_id_x 1
		.amdhsa_system_sgpr_workgroup_id_y 0
		.amdhsa_system_sgpr_workgroup_id_z 0
		.amdhsa_system_sgpr_workgroup_info 0
		.amdhsa_system_vgpr_workitem_id 0
		.amdhsa_next_free_vgpr 42
		.amdhsa_next_free_sgpr 16
		.amdhsa_reserve_vcc 1
		.amdhsa_float_round_mode_32 0
		.amdhsa_float_round_mode_16_64 0
		.amdhsa_float_denorm_mode_32 3
		.amdhsa_float_denorm_mode_16_64 3
		.amdhsa_dx10_clamp 1
		.amdhsa_ieee_mode 1
		.amdhsa_fp16_overflow 0
		.amdhsa_workgroup_processor_mode 1
		.amdhsa_memory_ordered 1
		.amdhsa_forward_progress 0
		.amdhsa_shared_vgpr_count 0
		.amdhsa_exception_fp_ieee_invalid_op 0
		.amdhsa_exception_fp_denorm_src 0
		.amdhsa_exception_fp_ieee_div_zero 0
		.amdhsa_exception_fp_ieee_overflow 0
		.amdhsa_exception_fp_ieee_underflow 0
		.amdhsa_exception_fp_ieee_inexact 0
		.amdhsa_exception_int_div_zero 0
	.end_amdhsa_kernel
	.section	.text._Z6kernelI6reduceILN6hipcub20BlockReduceAlgorithmE0EEdLj256ELj16ELj100EEvPKT0_PS4_,"axG",@progbits,_Z6kernelI6reduceILN6hipcub20BlockReduceAlgorithmE0EEdLj256ELj16ELj100EEvPKT0_PS4_,comdat
.Lfunc_end55:
	.size	_Z6kernelI6reduceILN6hipcub20BlockReduceAlgorithmE0EEdLj256ELj16ELj100EEvPKT0_PS4_, .Lfunc_end55-_Z6kernelI6reduceILN6hipcub20BlockReduceAlgorithmE0EEdLj256ELj16ELj100EEvPKT0_PS4_
                                        ; -- End function
	.section	.AMDGPU.csdata,"",@progbits
; Kernel info:
; codeLenInByte = 840
; NumSgprs: 18
; NumVgprs: 42
; ScratchSize: 0
; MemoryBound: 1
; FloatMode: 240
; IeeeMode: 1
; LDSByteSize: 64 bytes/workgroup (compile time only)
; SGPRBlocks: 2
; VGPRBlocks: 5
; NumSGPRsForWavesPerEU: 18
; NumVGPRsForWavesPerEU: 42
; Occupancy: 16
; WaveLimiterHint : 0
; COMPUTE_PGM_RSRC2:SCRATCH_EN: 0
; COMPUTE_PGM_RSRC2:USER_SGPR: 15
; COMPUTE_PGM_RSRC2:TRAP_HANDLER: 0
; COMPUTE_PGM_RSRC2:TGID_X_EN: 1
; COMPUTE_PGM_RSRC2:TGID_Y_EN: 0
; COMPUTE_PGM_RSRC2:TGID_Z_EN: 0
; COMPUTE_PGM_RSRC2:TIDIG_COMP_CNT: 0
	.section	.text._Z6kernelI6reduceILN6hipcub20BlockReduceAlgorithmE0EEaLj256ELj1ELj100EEvPKT0_PS4_,"axG",@progbits,_Z6kernelI6reduceILN6hipcub20BlockReduceAlgorithmE0EEaLj256ELj1ELj100EEvPKT0_PS4_,comdat
	.protected	_Z6kernelI6reduceILN6hipcub20BlockReduceAlgorithmE0EEaLj256ELj1ELj100EEvPKT0_PS4_ ; -- Begin function _Z6kernelI6reduceILN6hipcub20BlockReduceAlgorithmE0EEaLj256ELj1ELj100EEvPKT0_PS4_
	.globl	_Z6kernelI6reduceILN6hipcub20BlockReduceAlgorithmE0EEaLj256ELj1ELj100EEvPKT0_PS4_
	.p2align	8
	.type	_Z6kernelI6reduceILN6hipcub20BlockReduceAlgorithmE0EEaLj256ELj1ELj100EEvPKT0_PS4_,@function
_Z6kernelI6reduceILN6hipcub20BlockReduceAlgorithmE0EEaLj256ELj1ELj100EEvPKT0_PS4_: ; @_Z6kernelI6reduceILN6hipcub20BlockReduceAlgorithmE0EEaLj256ELj1ELj100EEvPKT0_PS4_
; %bb.0:
	s_clause 0x1
	s_load_b32 s4, s[0:1], 0x1c
	s_load_b128 s[0:3], s[0:1], 0x0
	v_mbcnt_lo_u32_b32 v7, -1, 0
	s_delay_alu instid0(VALU_DEP_1) | instskip(SKIP_2) | instid1(SALU_CYCLE_1)
	v_cmp_eq_u32_e32 vcc_lo, 0, v7
	s_waitcnt lgkmcnt(0)
	s_and_b32 s4, s4, 0xffff
	v_mad_u64_u32 v[1:2], null, s15, s4, v[0:1]
	v_mov_b32_e32 v2, 0x7c
	global_load_u8 v3, v1, s[0:1]
	v_and_b32_e32 v1, 7, v7
	s_movk_i32 s1, 0x64
	s_delay_alu instid0(VALU_DEP_1) | instskip(NEXT) | instid1(VALU_DEP_1)
	v_cmp_gt_u32_e64 s0, 6, v1
	v_cndmask_b32_e64 v4, 0, 1, s0
	v_cmp_gt_u32_e64 s0, 4, v1
	s_delay_alu instid0(VALU_DEP_2) | instskip(NEXT) | instid1(VALU_DEP_2)
	v_lshlrev_b32_e32 v8, 1, v4
	v_cndmask_b32_e64 v5, 0, 1, s0
	v_cmp_ne_u32_e64 s0, 7, v1
	v_lshrrev_b32_e32 v4, 5, v0
	s_delay_alu instid0(VALU_DEP_3) | instskip(NEXT) | instid1(VALU_DEP_3)
	v_lshlrev_b32_e32 v9, 2, v5
	v_add_co_ci_u32_e64 v6, s0, 0, v7, s0
	v_cmp_gt_u32_e64 s0, 32, v0
	s_delay_alu instid0(VALU_DEP_2)
	v_lshlrev_b32_e32 v5, 2, v6
	v_add_lshl_u32 v6, v8, v7, 2
	v_add_lshl_u32 v7, v9, v7, 2
	s_branch .LBB56_2
.LBB56_1:                               ;   in Loop: Header=BB56_2 Depth=1
	s_or_b32 exec_lo, exec_lo, s4
	s_add_i32 s1, s1, -1
	s_delay_alu instid0(SALU_CYCLE_1)
	s_cmp_eq_u32 s1, 0
	s_cbranch_scc1 .LBB56_6
.LBB56_2:                               ; =>This Inner Loop Header: Depth=1
	s_waitcnt vmcnt(0)
	v_and_b32_e32 v8, 0xff, v3
	s_delay_alu instid0(VALU_DEP_1) | instskip(NEXT) | instid1(VALU_DEP_1)
	v_mov_b32_dpp v8, v8 quad_perm:[1,0,3,2] row_mask:0xf bank_mask:0xf
	v_add_nc_u16 v3, v3, v8
	s_delay_alu instid0(VALU_DEP_1) | instskip(NEXT) | instid1(VALU_DEP_1)
	v_and_b32_e32 v8, 0xff, v3
	v_mov_b32_dpp v8, v8 quad_perm:[2,3,0,1] row_mask:0xf bank_mask:0xf
	s_delay_alu instid0(VALU_DEP_1) | instskip(NEXT) | instid1(VALU_DEP_1)
	v_add_nc_u16 v3, v3, v8
	v_and_b32_e32 v8, 0xff, v3
	s_delay_alu instid0(VALU_DEP_1) | instskip(NEXT) | instid1(VALU_DEP_1)
	v_mov_b32_dpp v8, v8 row_ror:4 row_mask:0xf bank_mask:0xf
	v_add_nc_u16 v3, v3, v8
	s_delay_alu instid0(VALU_DEP_1) | instskip(NEXT) | instid1(VALU_DEP_1)
	v_and_b32_e32 v8, 0xff, v3
	v_mov_b32_dpp v8, v8 row_ror:8 row_mask:0xf bank_mask:0xf
	s_delay_alu instid0(VALU_DEP_1) | instskip(NEXT) | instid1(VALU_DEP_1)
	v_add_nc_u16 v3, v3, v8
	v_and_b32_e32 v8, 0xff, v3
	ds_swizzle_b32 v8, v8 offset:swizzle(BROADCAST,32,15)
	s_waitcnt lgkmcnt(0)
	v_add_nc_u16 v3, v3, v8
	s_delay_alu instid0(VALU_DEP_1)
	v_and_b32_e32 v3, 0xff, v3
	ds_bpermute_b32 v3, v2, v3
	s_and_saveexec_b32 s4, vcc_lo
	s_cbranch_execz .LBB56_4
; %bb.3:                                ;   in Loop: Header=BB56_2 Depth=1
	s_waitcnt lgkmcnt(0)
	ds_store_b8 v4, v3
.LBB56_4:                               ;   in Loop: Header=BB56_2 Depth=1
	s_or_b32 exec_lo, exec_lo, s4
	s_waitcnt lgkmcnt(0)
	s_barrier
	buffer_gl0_inv
	s_and_saveexec_b32 s4, s0
	s_cbranch_execz .LBB56_1
; %bb.5:                                ;   in Loop: Header=BB56_2 Depth=1
	ds_load_u8 v3, v1
	s_waitcnt lgkmcnt(0)
	v_and_b32_e32 v8, 0xff, v3
	ds_bpermute_b32 v8, v5, v8
	s_waitcnt lgkmcnt(0)
	v_add_nc_u16 v3, v3, v8
	s_delay_alu instid0(VALU_DEP_1) | instskip(SKIP_3) | instid1(VALU_DEP_1)
	v_and_b32_e32 v8, 0xff, v3
	ds_bpermute_b32 v8, v6, v8
	s_waitcnt lgkmcnt(0)
	v_add_nc_u16 v3, v3, v8
	v_and_b32_e32 v8, 0xff, v3
	ds_bpermute_b32 v8, v7, v8
	s_waitcnt lgkmcnt(0)
	v_add_nc_u16 v3, v3, v8
	s_branch .LBB56_1
.LBB56_6:
	s_mov_b32 s0, exec_lo
	v_cmpx_eq_u32_e32 0, v0
	s_cbranch_execz .LBB56_8
; %bb.7:
	v_mov_b32_e32 v0, s15
	global_store_b8 v0, v3, s[2:3]
.LBB56_8:
	s_nop 0
	s_sendmsg sendmsg(MSG_DEALLOC_VGPRS)
	s_endpgm
	.section	.rodata,"a",@progbits
	.p2align	6, 0x0
	.amdhsa_kernel _Z6kernelI6reduceILN6hipcub20BlockReduceAlgorithmE0EEaLj256ELj1ELj100EEvPKT0_PS4_
		.amdhsa_group_segment_fixed_size 8
		.amdhsa_private_segment_fixed_size 0
		.amdhsa_kernarg_size 272
		.amdhsa_user_sgpr_count 15
		.amdhsa_user_sgpr_dispatch_ptr 0
		.amdhsa_user_sgpr_queue_ptr 0
		.amdhsa_user_sgpr_kernarg_segment_ptr 1
		.amdhsa_user_sgpr_dispatch_id 0
		.amdhsa_user_sgpr_private_segment_size 0
		.amdhsa_wavefront_size32 1
		.amdhsa_uses_dynamic_stack 0
		.amdhsa_enable_private_segment 0
		.amdhsa_system_sgpr_workgroup_id_x 1
		.amdhsa_system_sgpr_workgroup_id_y 0
		.amdhsa_system_sgpr_workgroup_id_z 0
		.amdhsa_system_sgpr_workgroup_info 0
		.amdhsa_system_vgpr_workitem_id 0
		.amdhsa_next_free_vgpr 10
		.amdhsa_next_free_sgpr 16
		.amdhsa_reserve_vcc 1
		.amdhsa_float_round_mode_32 0
		.amdhsa_float_round_mode_16_64 0
		.amdhsa_float_denorm_mode_32 3
		.amdhsa_float_denorm_mode_16_64 3
		.amdhsa_dx10_clamp 1
		.amdhsa_ieee_mode 1
		.amdhsa_fp16_overflow 0
		.amdhsa_workgroup_processor_mode 1
		.amdhsa_memory_ordered 1
		.amdhsa_forward_progress 0
		.amdhsa_shared_vgpr_count 0
		.amdhsa_exception_fp_ieee_invalid_op 0
		.amdhsa_exception_fp_denorm_src 0
		.amdhsa_exception_fp_ieee_div_zero 0
		.amdhsa_exception_fp_ieee_overflow 0
		.amdhsa_exception_fp_ieee_underflow 0
		.amdhsa_exception_fp_ieee_inexact 0
		.amdhsa_exception_int_div_zero 0
	.end_amdhsa_kernel
	.section	.text._Z6kernelI6reduceILN6hipcub20BlockReduceAlgorithmE0EEaLj256ELj1ELj100EEvPKT0_PS4_,"axG",@progbits,_Z6kernelI6reduceILN6hipcub20BlockReduceAlgorithmE0EEaLj256ELj1ELj100EEvPKT0_PS4_,comdat
.Lfunc_end56:
	.size	_Z6kernelI6reduceILN6hipcub20BlockReduceAlgorithmE0EEaLj256ELj1ELj100EEvPKT0_PS4_, .Lfunc_end56-_Z6kernelI6reduceILN6hipcub20BlockReduceAlgorithmE0EEaLj256ELj1ELj100EEvPKT0_PS4_
                                        ; -- End function
	.section	.AMDGPU.csdata,"",@progbits
; Kernel info:
; codeLenInByte = 568
; NumSgprs: 18
; NumVgprs: 10
; ScratchSize: 0
; MemoryBound: 0
; FloatMode: 240
; IeeeMode: 1
; LDSByteSize: 8 bytes/workgroup (compile time only)
; SGPRBlocks: 2
; VGPRBlocks: 1
; NumSGPRsForWavesPerEU: 18
; NumVGPRsForWavesPerEU: 10
; Occupancy: 16
; WaveLimiterHint : 0
; COMPUTE_PGM_RSRC2:SCRATCH_EN: 0
; COMPUTE_PGM_RSRC2:USER_SGPR: 15
; COMPUTE_PGM_RSRC2:TRAP_HANDLER: 0
; COMPUTE_PGM_RSRC2:TGID_X_EN: 1
; COMPUTE_PGM_RSRC2:TGID_Y_EN: 0
; COMPUTE_PGM_RSRC2:TGID_Z_EN: 0
; COMPUTE_PGM_RSRC2:TIDIG_COMP_CNT: 0
	.section	.text._Z6kernelI6reduceILN6hipcub20BlockReduceAlgorithmE0EEaLj256ELj2ELj100EEvPKT0_PS4_,"axG",@progbits,_Z6kernelI6reduceILN6hipcub20BlockReduceAlgorithmE0EEaLj256ELj2ELj100EEvPKT0_PS4_,comdat
	.protected	_Z6kernelI6reduceILN6hipcub20BlockReduceAlgorithmE0EEaLj256ELj2ELj100EEvPKT0_PS4_ ; -- Begin function _Z6kernelI6reduceILN6hipcub20BlockReduceAlgorithmE0EEaLj256ELj2ELj100EEvPKT0_PS4_
	.globl	_Z6kernelI6reduceILN6hipcub20BlockReduceAlgorithmE0EEaLj256ELj2ELj100EEvPKT0_PS4_
	.p2align	8
	.type	_Z6kernelI6reduceILN6hipcub20BlockReduceAlgorithmE0EEaLj256ELj2ELj100EEvPKT0_PS4_,@function
_Z6kernelI6reduceILN6hipcub20BlockReduceAlgorithmE0EEaLj256ELj2ELj100EEvPKT0_PS4_: ; @_Z6kernelI6reduceILN6hipcub20BlockReduceAlgorithmE0EEaLj256ELj2ELj100EEvPKT0_PS4_
; %bb.0:
	s_clause 0x1
	s_load_b32 s4, s[0:1], 0x1c
	s_load_b128 s[0:3], s[0:1], 0x0
	v_mbcnt_lo_u32_b32 v7, -1, 0
	s_delay_alu instid0(VALU_DEP_1) | instskip(SKIP_3) | instid1(SALU_CYCLE_1)
	v_dual_mov_b32 v3, 0x7c :: v_dual_and_b32 v2, 7, v7
	v_cmp_eq_u32_e32 vcc_lo, 0, v7
	s_waitcnt lgkmcnt(0)
	s_and_b32 s4, s4, 0xffff
	s_mul_i32 s4, s15, s4
	s_delay_alu instid0(SALU_CYCLE_1) | instskip(SKIP_3) | instid1(VALU_DEP_1)
	v_add_lshl_u32 v1, s4, v0, 1
	global_load_u16 v1, v1, s[0:1]
	v_cmp_gt_u32_e64 s0, 6, v2
	s_movk_i32 s1, 0x64
	v_cndmask_b32_e64 v4, 0, 1, s0
	v_cmp_gt_u32_e64 s0, 4, v2
	s_delay_alu instid0(VALU_DEP_2) | instskip(NEXT) | instid1(VALU_DEP_2)
	v_lshlrev_b32_e32 v8, 1, v4
	v_cndmask_b32_e64 v5, 0, 1, s0
	v_cmp_ne_u32_e64 s0, 7, v2
	v_lshrrev_b32_e32 v4, 5, v0
	s_delay_alu instid0(VALU_DEP_3) | instskip(NEXT) | instid1(VALU_DEP_3)
	v_lshlrev_b32_e32 v9, 2, v5
	v_add_co_ci_u32_e64 v6, s0, 0, v7, s0
	v_cmp_gt_u32_e64 s0, 32, v0
	s_delay_alu instid0(VALU_DEP_2)
	v_lshlrev_b32_e32 v5, 2, v6
	v_add_lshl_u32 v6, v8, v7, 2
	v_add_lshl_u32 v7, v9, v7, 2
	s_branch .LBB57_2
.LBB57_1:                               ;   in Loop: Header=BB57_2 Depth=1
	s_or_b32 exec_lo, exec_lo, s4
	v_and_b32_e32 v1, 0xffffff00, v1
	s_delay_alu instid0(VALU_DEP_2) | instskip(SKIP_1) | instid1(SALU_CYCLE_1)
	v_and_b32_e32 v9, 0xff, v8
	s_add_i32 s1, s1, -1
	s_cmp_eq_u32 s1, 0
	s_delay_alu instid0(VALU_DEP_1) | instskip(NEXT) | instid1(VALU_DEP_1)
	v_or_b32_e32 v1, v9, v1
	v_and_b32_e32 v1, 0xffff, v1
	s_cbranch_scc1 .LBB57_6
.LBB57_2:                               ; =>This Inner Loop Header: Depth=1
	s_waitcnt vmcnt(0)
	s_delay_alu instid0(VALU_DEP_1) | instskip(NEXT) | instid1(VALU_DEP_1)
	v_lshrrev_b16 v8, 8, v1
	v_add_nc_u16 v8, v8, v1
	s_delay_alu instid0(VALU_DEP_1) | instskip(NEXT) | instid1(VALU_DEP_1)
	v_and_b32_e32 v9, 0xff, v8
	v_mov_b32_dpp v9, v9 quad_perm:[1,0,3,2] row_mask:0xf bank_mask:0xf
	s_delay_alu instid0(VALU_DEP_1) | instskip(NEXT) | instid1(VALU_DEP_1)
	v_add_nc_u16 v8, v8, v9
	v_and_b32_e32 v9, 0xff, v8
	s_delay_alu instid0(VALU_DEP_1) | instskip(NEXT) | instid1(VALU_DEP_1)
	v_mov_b32_dpp v9, v9 quad_perm:[2,3,0,1] row_mask:0xf bank_mask:0xf
	v_add_nc_u16 v8, v8, v9
	s_delay_alu instid0(VALU_DEP_1) | instskip(NEXT) | instid1(VALU_DEP_1)
	v_and_b32_e32 v9, 0xff, v8
	v_mov_b32_dpp v9, v9 row_ror:4 row_mask:0xf bank_mask:0xf
	s_delay_alu instid0(VALU_DEP_1) | instskip(NEXT) | instid1(VALU_DEP_1)
	v_add_nc_u16 v8, v8, v9
	v_and_b32_e32 v9, 0xff, v8
	s_delay_alu instid0(VALU_DEP_1) | instskip(NEXT) | instid1(VALU_DEP_1)
	v_mov_b32_dpp v9, v9 row_ror:8 row_mask:0xf bank_mask:0xf
	v_add_nc_u16 v8, v8, v9
	s_delay_alu instid0(VALU_DEP_1) | instskip(SKIP_3) | instid1(VALU_DEP_1)
	v_and_b32_e32 v9, 0xff, v8
	ds_swizzle_b32 v9, v9 offset:swizzle(BROADCAST,32,15)
	s_waitcnt lgkmcnt(0)
	v_add_nc_u16 v8, v8, v9
	v_and_b32_e32 v8, 0xff, v8
	ds_bpermute_b32 v8, v3, v8
	s_and_saveexec_b32 s4, vcc_lo
	s_cbranch_execz .LBB57_4
; %bb.3:                                ;   in Loop: Header=BB57_2 Depth=1
	s_waitcnt lgkmcnt(0)
	ds_store_b8 v4, v8
.LBB57_4:                               ;   in Loop: Header=BB57_2 Depth=1
	s_or_b32 exec_lo, exec_lo, s4
	s_waitcnt lgkmcnt(0)
	s_barrier
	buffer_gl0_inv
	s_and_saveexec_b32 s4, s0
	s_cbranch_execz .LBB57_1
; %bb.5:                                ;   in Loop: Header=BB57_2 Depth=1
	ds_load_u8 v8, v2
	s_waitcnt lgkmcnt(0)
	v_and_b32_e32 v9, 0xff, v8
	ds_bpermute_b32 v9, v5, v9
	s_waitcnt lgkmcnt(0)
	v_add_nc_u16 v8, v8, v9
	s_delay_alu instid0(VALU_DEP_1) | instskip(SKIP_3) | instid1(VALU_DEP_1)
	v_and_b32_e32 v9, 0xff, v8
	ds_bpermute_b32 v9, v6, v9
	s_waitcnt lgkmcnt(0)
	v_add_nc_u16 v8, v8, v9
	v_and_b32_e32 v9, 0xff, v8
	ds_bpermute_b32 v9, v7, v9
	s_waitcnt lgkmcnt(0)
	v_add_nc_u16 v8, v8, v9
	s_branch .LBB57_1
.LBB57_6:
	s_mov_b32 s0, exec_lo
	v_cmpx_eq_u32_e32 0, v0
	s_cbranch_execz .LBB57_8
; %bb.7:
	v_mov_b32_e32 v0, s15
	global_store_b8 v0, v8, s[2:3]
.LBB57_8:
	s_nop 0
	s_sendmsg sendmsg(MSG_DEALLOC_VGPRS)
	s_endpgm
	.section	.rodata,"a",@progbits
	.p2align	6, 0x0
	.amdhsa_kernel _Z6kernelI6reduceILN6hipcub20BlockReduceAlgorithmE0EEaLj256ELj2ELj100EEvPKT0_PS4_
		.amdhsa_group_segment_fixed_size 8
		.amdhsa_private_segment_fixed_size 0
		.amdhsa_kernarg_size 272
		.amdhsa_user_sgpr_count 15
		.amdhsa_user_sgpr_dispatch_ptr 0
		.amdhsa_user_sgpr_queue_ptr 0
		.amdhsa_user_sgpr_kernarg_segment_ptr 1
		.amdhsa_user_sgpr_dispatch_id 0
		.amdhsa_user_sgpr_private_segment_size 0
		.amdhsa_wavefront_size32 1
		.amdhsa_uses_dynamic_stack 0
		.amdhsa_enable_private_segment 0
		.amdhsa_system_sgpr_workgroup_id_x 1
		.amdhsa_system_sgpr_workgroup_id_y 0
		.amdhsa_system_sgpr_workgroup_id_z 0
		.amdhsa_system_sgpr_workgroup_info 0
		.amdhsa_system_vgpr_workitem_id 0
		.amdhsa_next_free_vgpr 10
		.amdhsa_next_free_sgpr 16
		.amdhsa_reserve_vcc 1
		.amdhsa_float_round_mode_32 0
		.amdhsa_float_round_mode_16_64 0
		.amdhsa_float_denorm_mode_32 3
		.amdhsa_float_denorm_mode_16_64 3
		.amdhsa_dx10_clamp 1
		.amdhsa_ieee_mode 1
		.amdhsa_fp16_overflow 0
		.amdhsa_workgroup_processor_mode 1
		.amdhsa_memory_ordered 1
		.amdhsa_forward_progress 0
		.amdhsa_shared_vgpr_count 0
		.amdhsa_exception_fp_ieee_invalid_op 0
		.amdhsa_exception_fp_denorm_src 0
		.amdhsa_exception_fp_ieee_div_zero 0
		.amdhsa_exception_fp_ieee_overflow 0
		.amdhsa_exception_fp_ieee_underflow 0
		.amdhsa_exception_fp_ieee_inexact 0
		.amdhsa_exception_int_div_zero 0
	.end_amdhsa_kernel
	.section	.text._Z6kernelI6reduceILN6hipcub20BlockReduceAlgorithmE0EEaLj256ELj2ELj100EEvPKT0_PS4_,"axG",@progbits,_Z6kernelI6reduceILN6hipcub20BlockReduceAlgorithmE0EEaLj256ELj2ELj100EEvPKT0_PS4_,comdat
.Lfunc_end57:
	.size	_Z6kernelI6reduceILN6hipcub20BlockReduceAlgorithmE0EEaLj256ELj2ELj100EEvPKT0_PS4_, .Lfunc_end57-_Z6kernelI6reduceILN6hipcub20BlockReduceAlgorithmE0EEaLj256ELj2ELj100EEvPKT0_PS4_
                                        ; -- End function
	.section	.AMDGPU.csdata,"",@progbits
; Kernel info:
; codeLenInByte = 624
; NumSgprs: 18
; NumVgprs: 10
; ScratchSize: 0
; MemoryBound: 0
; FloatMode: 240
; IeeeMode: 1
; LDSByteSize: 8 bytes/workgroup (compile time only)
; SGPRBlocks: 2
; VGPRBlocks: 1
; NumSGPRsForWavesPerEU: 18
; NumVGPRsForWavesPerEU: 10
; Occupancy: 16
; WaveLimiterHint : 0
; COMPUTE_PGM_RSRC2:SCRATCH_EN: 0
; COMPUTE_PGM_RSRC2:USER_SGPR: 15
; COMPUTE_PGM_RSRC2:TRAP_HANDLER: 0
; COMPUTE_PGM_RSRC2:TGID_X_EN: 1
; COMPUTE_PGM_RSRC2:TGID_Y_EN: 0
; COMPUTE_PGM_RSRC2:TGID_Z_EN: 0
; COMPUTE_PGM_RSRC2:TIDIG_COMP_CNT: 0
	.section	.text._Z6kernelI6reduceILN6hipcub20BlockReduceAlgorithmE0EEaLj256ELj3ELj100EEvPKT0_PS4_,"axG",@progbits,_Z6kernelI6reduceILN6hipcub20BlockReduceAlgorithmE0EEaLj256ELj3ELj100EEvPKT0_PS4_,comdat
	.protected	_Z6kernelI6reduceILN6hipcub20BlockReduceAlgorithmE0EEaLj256ELj3ELj100EEvPKT0_PS4_ ; -- Begin function _Z6kernelI6reduceILN6hipcub20BlockReduceAlgorithmE0EEaLj256ELj3ELj100EEvPKT0_PS4_
	.globl	_Z6kernelI6reduceILN6hipcub20BlockReduceAlgorithmE0EEaLj256ELj3ELj100EEvPKT0_PS4_
	.p2align	8
	.type	_Z6kernelI6reduceILN6hipcub20BlockReduceAlgorithmE0EEaLj256ELj3ELj100EEvPKT0_PS4_,@function
_Z6kernelI6reduceILN6hipcub20BlockReduceAlgorithmE0EEaLj256ELj3ELj100EEvPKT0_PS4_: ; @_Z6kernelI6reduceILN6hipcub20BlockReduceAlgorithmE0EEaLj256ELj3ELj100EEvPKT0_PS4_
; %bb.0:
	s_clause 0x1
	s_load_b32 s4, s[0:1], 0x1c
	s_load_b128 s[0:3], s[0:1], 0x0
	v_mbcnt_lo_u32_b32 v7, -1, 0
	s_delay_alu instid0(VALU_DEP_1) | instskip(SKIP_2) | instid1(SALU_CYCLE_1)
	v_cmp_eq_u32_e32 vcc_lo, 0, v7
	s_waitcnt lgkmcnt(0)
	s_and_b32 s4, s4, 0xffff
	v_mad_u64_u32 v[1:2], null, s15, s4, v[0:1]
	s_delay_alu instid0(VALU_DEP_1) | instskip(NEXT) | instid1(VALU_DEP_1)
	v_lshl_add_u32 v1, v1, 1, v1
	v_add_nc_u32_e32 v2, 1, v1
	s_clause 0x1
	global_load_u8 v3, v2, s[0:1]
	global_load_u8 v4, v1, s[0:1]
	v_dual_mov_b32 v2, 0x7c :: v_dual_add_nc_u32 v1, 2, v1
	global_load_u8 v6, v1, s[0:1]
	v_and_b32_e32 v1, 7, v7
	v_cmp_gt_u32_e64 s0, 32, v0
	s_delay_alu instid0(VALU_DEP_2) | instskip(NEXT) | instid1(VALU_DEP_1)
	v_cmp_gt_u32_e64 s1, 6, v1
	v_cndmask_b32_e64 v5, 0, 1, s1
	v_cmp_gt_u32_e64 s1, 4, v1
	s_delay_alu instid0(VALU_DEP_2) | instskip(NEXT) | instid1(VALU_DEP_2)
	v_lshlrev_b32_e32 v5, 1, v5
	v_cndmask_b32_e64 v8, 0, 1, s1
	v_cmp_ne_u32_e64 s1, 7, v1
	s_delay_alu instid0(VALU_DEP_3) | instskip(NEXT) | instid1(VALU_DEP_3)
	v_add_lshl_u32 v5, v5, v7, 2
	v_lshlrev_b32_e32 v8, 2, v8
	s_waitcnt vmcnt(2)
	v_lshlrev_b16 v3, 8, v3
	s_waitcnt vmcnt(1)
	s_delay_alu instid0(VALU_DEP_1) | instskip(SKIP_3) | instid1(VALU_DEP_3)
	v_or_b32_e32 v3, v4, v3
	v_add_co_ci_u32_e64 v4, s1, 0, v7, s1
	v_add_lshl_u32 v7, v8, v7, 2
	s_movk_i32 s1, 0x64
	v_and_b32_e32 v9, 0xffff, v3
	v_lshrrev_b32_e32 v3, 5, v0
	v_lshlrev_b32_e32 v4, 2, v4
	s_waitcnt vmcnt(0)
	s_delay_alu instid0(VALU_DEP_3)
	v_lshl_or_b32 v6, v6, 16, v9
	s_branch .LBB58_2
.LBB58_1:                               ;   in Loop: Header=BB58_2 Depth=1
	s_or_b32 exec_lo, exec_lo, s4
	s_delay_alu instid0(VALU_DEP_1) | instskip(SKIP_2) | instid1(SALU_CYCLE_1)
	v_and_b32_e32 v10, 0xff, v9
	v_lshlrev_b16 v8, 8, v8
	s_add_i32 s1, s1, -1
	s_cmp_eq_u32 s1, 0
	s_delay_alu instid0(VALU_DEP_1) | instskip(NEXT) | instid1(VALU_DEP_1)
	v_or_b32_e32 v8, v10, v8
	v_and_b32_e32 v8, 0xffff, v8
	s_delay_alu instid0(VALU_DEP_1)
	v_and_or_b32 v6, 0xff0000, v6, v8
	s_cbranch_scc1 .LBB58_6
.LBB58_2:                               ; =>This Inner Loop Header: Depth=1
	s_delay_alu instid0(VALU_DEP_1) | instskip(SKIP_1) | instid1(VALU_DEP_2)
	v_lshrrev_b32_e32 v8, 8, v6
	v_lshrrev_b32_e32 v9, 16, v6
	v_add_nc_u16 v10, v8, v6
	s_delay_alu instid0(VALU_DEP_1) | instskip(NEXT) | instid1(VALU_DEP_1)
	v_add_nc_u16 v9, v10, v9
	v_and_b32_e32 v10, 0xff, v9
	s_delay_alu instid0(VALU_DEP_1) | instskip(NEXT) | instid1(VALU_DEP_1)
	v_mov_b32_dpp v10, v10 quad_perm:[1,0,3,2] row_mask:0xf bank_mask:0xf
	v_add_nc_u16 v9, v9, v10
	s_delay_alu instid0(VALU_DEP_1) | instskip(NEXT) | instid1(VALU_DEP_1)
	v_and_b32_e32 v10, 0xff, v9
	v_mov_b32_dpp v10, v10 quad_perm:[2,3,0,1] row_mask:0xf bank_mask:0xf
	s_delay_alu instid0(VALU_DEP_1) | instskip(NEXT) | instid1(VALU_DEP_1)
	v_add_nc_u16 v9, v9, v10
	v_and_b32_e32 v10, 0xff, v9
	s_delay_alu instid0(VALU_DEP_1) | instskip(NEXT) | instid1(VALU_DEP_1)
	v_mov_b32_dpp v10, v10 row_ror:4 row_mask:0xf bank_mask:0xf
	v_add_nc_u16 v9, v9, v10
	s_delay_alu instid0(VALU_DEP_1) | instskip(NEXT) | instid1(VALU_DEP_1)
	v_and_b32_e32 v10, 0xff, v9
	v_mov_b32_dpp v10, v10 row_ror:8 row_mask:0xf bank_mask:0xf
	s_delay_alu instid0(VALU_DEP_1) | instskip(NEXT) | instid1(VALU_DEP_1)
	v_add_nc_u16 v9, v9, v10
	v_and_b32_e32 v10, 0xff, v9
	ds_swizzle_b32 v10, v10 offset:swizzle(BROADCAST,32,15)
	s_waitcnt lgkmcnt(0)
	v_add_nc_u16 v9, v9, v10
	s_delay_alu instid0(VALU_DEP_1)
	v_and_b32_e32 v9, 0xff, v9
	ds_bpermute_b32 v9, v2, v9
	s_and_saveexec_b32 s4, vcc_lo
	s_cbranch_execz .LBB58_4
; %bb.3:                                ;   in Loop: Header=BB58_2 Depth=1
	s_waitcnt lgkmcnt(0)
	ds_store_b8 v3, v9
.LBB58_4:                               ;   in Loop: Header=BB58_2 Depth=1
	s_or_b32 exec_lo, exec_lo, s4
	s_waitcnt lgkmcnt(0)
	s_barrier
	buffer_gl0_inv
	s_and_saveexec_b32 s4, s0
	s_cbranch_execz .LBB58_1
; %bb.5:                                ;   in Loop: Header=BB58_2 Depth=1
	ds_load_u8 v9, v1
	s_waitcnt lgkmcnt(0)
	v_and_b32_e32 v10, 0xff, v9
	ds_bpermute_b32 v10, v4, v10
	s_waitcnt lgkmcnt(0)
	v_add_nc_u16 v9, v9, v10
	s_delay_alu instid0(VALU_DEP_1) | instskip(SKIP_3) | instid1(VALU_DEP_1)
	v_and_b32_e32 v10, 0xff, v9
	ds_bpermute_b32 v10, v5, v10
	s_waitcnt lgkmcnt(0)
	v_add_nc_u16 v9, v9, v10
	v_and_b32_e32 v10, 0xff, v9
	ds_bpermute_b32 v10, v7, v10
	s_waitcnt lgkmcnt(0)
	v_add_nc_u16 v9, v9, v10
	s_branch .LBB58_1
.LBB58_6:
	s_mov_b32 s0, exec_lo
	v_cmpx_eq_u32_e32 0, v0
	s_cbranch_execz .LBB58_8
; %bb.7:
	v_mov_b32_e32 v0, s15
	global_store_b8 v0, v9, s[2:3]
.LBB58_8:
	s_nop 0
	s_sendmsg sendmsg(MSG_DEALLOC_VGPRS)
	s_endpgm
	.section	.rodata,"a",@progbits
	.p2align	6, 0x0
	.amdhsa_kernel _Z6kernelI6reduceILN6hipcub20BlockReduceAlgorithmE0EEaLj256ELj3ELj100EEvPKT0_PS4_
		.amdhsa_group_segment_fixed_size 8
		.amdhsa_private_segment_fixed_size 0
		.amdhsa_kernarg_size 272
		.amdhsa_user_sgpr_count 15
		.amdhsa_user_sgpr_dispatch_ptr 0
		.amdhsa_user_sgpr_queue_ptr 0
		.amdhsa_user_sgpr_kernarg_segment_ptr 1
		.amdhsa_user_sgpr_dispatch_id 0
		.amdhsa_user_sgpr_private_segment_size 0
		.amdhsa_wavefront_size32 1
		.amdhsa_uses_dynamic_stack 0
		.amdhsa_enable_private_segment 0
		.amdhsa_system_sgpr_workgroup_id_x 1
		.amdhsa_system_sgpr_workgroup_id_y 0
		.amdhsa_system_sgpr_workgroup_id_z 0
		.amdhsa_system_sgpr_workgroup_info 0
		.amdhsa_system_vgpr_workitem_id 0
		.amdhsa_next_free_vgpr 11
		.amdhsa_next_free_sgpr 16
		.amdhsa_reserve_vcc 1
		.amdhsa_float_round_mode_32 0
		.amdhsa_float_round_mode_16_64 0
		.amdhsa_float_denorm_mode_32 3
		.amdhsa_float_denorm_mode_16_64 3
		.amdhsa_dx10_clamp 1
		.amdhsa_ieee_mode 1
		.amdhsa_fp16_overflow 0
		.amdhsa_workgroup_processor_mode 1
		.amdhsa_memory_ordered 1
		.amdhsa_forward_progress 0
		.amdhsa_shared_vgpr_count 0
		.amdhsa_exception_fp_ieee_invalid_op 0
		.amdhsa_exception_fp_denorm_src 0
		.amdhsa_exception_fp_ieee_div_zero 0
		.amdhsa_exception_fp_ieee_overflow 0
		.amdhsa_exception_fp_ieee_underflow 0
		.amdhsa_exception_fp_ieee_inexact 0
		.amdhsa_exception_int_div_zero 0
	.end_amdhsa_kernel
	.section	.text._Z6kernelI6reduceILN6hipcub20BlockReduceAlgorithmE0EEaLj256ELj3ELj100EEvPKT0_PS4_,"axG",@progbits,_Z6kernelI6reduceILN6hipcub20BlockReduceAlgorithmE0EEaLj256ELj3ELj100EEvPKT0_PS4_,comdat
.Lfunc_end58:
	.size	_Z6kernelI6reduceILN6hipcub20BlockReduceAlgorithmE0EEaLj256ELj3ELj100EEvPKT0_PS4_, .Lfunc_end58-_Z6kernelI6reduceILN6hipcub20BlockReduceAlgorithmE0EEaLj256ELj3ELj100EEvPKT0_PS4_
                                        ; -- End function
	.section	.AMDGPU.csdata,"",@progbits
; Kernel info:
; codeLenInByte = 728
; NumSgprs: 18
; NumVgprs: 11
; ScratchSize: 0
; MemoryBound: 0
; FloatMode: 240
; IeeeMode: 1
; LDSByteSize: 8 bytes/workgroup (compile time only)
; SGPRBlocks: 2
; VGPRBlocks: 1
; NumSGPRsForWavesPerEU: 18
; NumVGPRsForWavesPerEU: 11
; Occupancy: 16
; WaveLimiterHint : 0
; COMPUTE_PGM_RSRC2:SCRATCH_EN: 0
; COMPUTE_PGM_RSRC2:USER_SGPR: 15
; COMPUTE_PGM_RSRC2:TRAP_HANDLER: 0
; COMPUTE_PGM_RSRC2:TGID_X_EN: 1
; COMPUTE_PGM_RSRC2:TGID_Y_EN: 0
; COMPUTE_PGM_RSRC2:TGID_Z_EN: 0
; COMPUTE_PGM_RSRC2:TIDIG_COMP_CNT: 0
	.section	.text._Z6kernelI6reduceILN6hipcub20BlockReduceAlgorithmE0EEaLj256ELj4ELj100EEvPKT0_PS4_,"axG",@progbits,_Z6kernelI6reduceILN6hipcub20BlockReduceAlgorithmE0EEaLj256ELj4ELj100EEvPKT0_PS4_,comdat
	.protected	_Z6kernelI6reduceILN6hipcub20BlockReduceAlgorithmE0EEaLj256ELj4ELj100EEvPKT0_PS4_ ; -- Begin function _Z6kernelI6reduceILN6hipcub20BlockReduceAlgorithmE0EEaLj256ELj4ELj100EEvPKT0_PS4_
	.globl	_Z6kernelI6reduceILN6hipcub20BlockReduceAlgorithmE0EEaLj256ELj4ELj100EEvPKT0_PS4_
	.p2align	8
	.type	_Z6kernelI6reduceILN6hipcub20BlockReduceAlgorithmE0EEaLj256ELj4ELj100EEvPKT0_PS4_,@function
_Z6kernelI6reduceILN6hipcub20BlockReduceAlgorithmE0EEaLj256ELj4ELj100EEvPKT0_PS4_: ; @_Z6kernelI6reduceILN6hipcub20BlockReduceAlgorithmE0EEaLj256ELj4ELj100EEvPKT0_PS4_
; %bb.0:
	s_clause 0x1
	s_load_b32 s4, s[0:1], 0x1c
	s_load_b128 s[0:3], s[0:1], 0x0
	v_mbcnt_lo_u32_b32 v7, -1, 0
	s_delay_alu instid0(VALU_DEP_1) | instskip(SKIP_3) | instid1(SALU_CYCLE_1)
	v_dual_mov_b32 v3, 0x7c :: v_dual_and_b32 v2, 7, v7
	v_cmp_eq_u32_e32 vcc_lo, 0, v7
	s_waitcnt lgkmcnt(0)
	s_and_b32 s4, s4, 0xffff
	s_mul_i32 s4, s15, s4
	s_delay_alu instid0(SALU_CYCLE_1) | instskip(SKIP_3) | instid1(VALU_DEP_1)
	v_add_lshl_u32 v1, s4, v0, 2
	global_load_b32 v1, v1, s[0:1]
	v_cmp_gt_u32_e64 s0, 6, v2
	s_movk_i32 s1, 0x64
	v_cndmask_b32_e64 v4, 0, 1, s0
	v_cmp_gt_u32_e64 s0, 4, v2
	s_delay_alu instid0(VALU_DEP_2) | instskip(NEXT) | instid1(VALU_DEP_2)
	v_lshlrev_b32_e32 v8, 1, v4
	v_cndmask_b32_e64 v5, 0, 1, s0
	v_cmp_ne_u32_e64 s0, 7, v2
	v_lshrrev_b32_e32 v4, 5, v0
	s_delay_alu instid0(VALU_DEP_3) | instskip(NEXT) | instid1(VALU_DEP_3)
	v_lshlrev_b32_e32 v9, 2, v5
	v_add_co_ci_u32_e64 v6, s0, 0, v7, s0
	v_cmp_gt_u32_e64 s0, 32, v0
	s_delay_alu instid0(VALU_DEP_2)
	v_lshlrev_b32_e32 v5, 2, v6
	v_add_lshl_u32 v6, v8, v7, 2
	v_add_lshl_u32 v7, v9, v7, 2
	s_branch .LBB59_2
.LBB59_1:                               ;   in Loop: Header=BB59_2 Depth=1
	s_or_b32 exec_lo, exec_lo, s4
	s_delay_alu instid0(VALU_DEP_1) | instskip(SKIP_1) | instid1(SALU_CYCLE_1)
	v_perm_b32 v1, v8, v1, 0x3020104
	s_add_i32 s1, s1, -1
	s_cmp_eq_u32 s1, 0
	s_cbranch_scc1 .LBB59_6
.LBB59_2:                               ; =>This Inner Loop Header: Depth=1
	s_waitcnt vmcnt(0)
	v_lshrrev_b32_e32 v8, 8, v1
	v_lshrrev_b32_e32 v9, 16, v1
	s_delay_alu instid0(VALU_DEP_2) | instskip(NEXT) | instid1(VALU_DEP_1)
	v_add_nc_u16 v8, v8, v1
	v_add_nc_u16 v8, v8, v9
	v_lshrrev_b32_e32 v9, 24, v1
	s_delay_alu instid0(VALU_DEP_1) | instskip(NEXT) | instid1(VALU_DEP_1)
	v_add_nc_u16 v8, v8, v9
	v_and_b32_e32 v9, 0xff, v8
	s_delay_alu instid0(VALU_DEP_1) | instskip(NEXT) | instid1(VALU_DEP_1)
	v_mov_b32_dpp v9, v9 quad_perm:[1,0,3,2] row_mask:0xf bank_mask:0xf
	v_add_nc_u16 v8, v8, v9
	s_delay_alu instid0(VALU_DEP_1) | instskip(NEXT) | instid1(VALU_DEP_1)
	v_and_b32_e32 v9, 0xff, v8
	v_mov_b32_dpp v9, v9 quad_perm:[2,3,0,1] row_mask:0xf bank_mask:0xf
	s_delay_alu instid0(VALU_DEP_1) | instskip(NEXT) | instid1(VALU_DEP_1)
	v_add_nc_u16 v8, v8, v9
	v_and_b32_e32 v9, 0xff, v8
	s_delay_alu instid0(VALU_DEP_1) | instskip(NEXT) | instid1(VALU_DEP_1)
	v_mov_b32_dpp v9, v9 row_ror:4 row_mask:0xf bank_mask:0xf
	v_add_nc_u16 v8, v8, v9
	s_delay_alu instid0(VALU_DEP_1) | instskip(NEXT) | instid1(VALU_DEP_1)
	v_and_b32_e32 v9, 0xff, v8
	v_mov_b32_dpp v9, v9 row_ror:8 row_mask:0xf bank_mask:0xf
	s_delay_alu instid0(VALU_DEP_1) | instskip(NEXT) | instid1(VALU_DEP_1)
	v_add_nc_u16 v8, v8, v9
	v_and_b32_e32 v9, 0xff, v8
	ds_swizzle_b32 v9, v9 offset:swizzle(BROADCAST,32,15)
	s_waitcnt lgkmcnt(0)
	v_add_nc_u16 v8, v8, v9
	s_delay_alu instid0(VALU_DEP_1)
	v_and_b32_e32 v8, 0xff, v8
	ds_bpermute_b32 v8, v3, v8
	s_and_saveexec_b32 s4, vcc_lo
	s_cbranch_execz .LBB59_4
; %bb.3:                                ;   in Loop: Header=BB59_2 Depth=1
	s_waitcnt lgkmcnt(0)
	ds_store_b8 v4, v8
.LBB59_4:                               ;   in Loop: Header=BB59_2 Depth=1
	s_or_b32 exec_lo, exec_lo, s4
	s_waitcnt lgkmcnt(0)
	s_barrier
	buffer_gl0_inv
	s_and_saveexec_b32 s4, s0
	s_cbranch_execz .LBB59_1
; %bb.5:                                ;   in Loop: Header=BB59_2 Depth=1
	ds_load_u8 v8, v2
	s_waitcnt lgkmcnt(0)
	v_and_b32_e32 v9, 0xff, v8
	ds_bpermute_b32 v9, v5, v9
	s_waitcnt lgkmcnt(0)
	v_add_nc_u16 v8, v8, v9
	s_delay_alu instid0(VALU_DEP_1) | instskip(SKIP_3) | instid1(VALU_DEP_1)
	v_and_b32_e32 v9, 0xff, v8
	ds_bpermute_b32 v9, v6, v9
	s_waitcnt lgkmcnt(0)
	v_add_nc_u16 v8, v8, v9
	v_and_b32_e32 v9, 0xff, v8
	ds_bpermute_b32 v9, v7, v9
	s_waitcnt lgkmcnt(0)
	v_add_nc_u16 v8, v8, v9
	s_branch .LBB59_1
.LBB59_6:
	s_mov_b32 s0, exec_lo
	v_cmpx_eq_u32_e32 0, v0
	s_cbranch_execz .LBB59_8
; %bb.7:
	v_mov_b32_e32 v0, s15
	global_store_b8 v0, v8, s[2:3]
.LBB59_8:
	s_nop 0
	s_sendmsg sendmsg(MSG_DEALLOC_VGPRS)
	s_endpgm
	.section	.rodata,"a",@progbits
	.p2align	6, 0x0
	.amdhsa_kernel _Z6kernelI6reduceILN6hipcub20BlockReduceAlgorithmE0EEaLj256ELj4ELj100EEvPKT0_PS4_
		.amdhsa_group_segment_fixed_size 8
		.amdhsa_private_segment_fixed_size 0
		.amdhsa_kernarg_size 272
		.amdhsa_user_sgpr_count 15
		.amdhsa_user_sgpr_dispatch_ptr 0
		.amdhsa_user_sgpr_queue_ptr 0
		.amdhsa_user_sgpr_kernarg_segment_ptr 1
		.amdhsa_user_sgpr_dispatch_id 0
		.amdhsa_user_sgpr_private_segment_size 0
		.amdhsa_wavefront_size32 1
		.amdhsa_uses_dynamic_stack 0
		.amdhsa_enable_private_segment 0
		.amdhsa_system_sgpr_workgroup_id_x 1
		.amdhsa_system_sgpr_workgroup_id_y 0
		.amdhsa_system_sgpr_workgroup_id_z 0
		.amdhsa_system_sgpr_workgroup_info 0
		.amdhsa_system_vgpr_workitem_id 0
		.amdhsa_next_free_vgpr 10
		.amdhsa_next_free_sgpr 16
		.amdhsa_reserve_vcc 1
		.amdhsa_float_round_mode_32 0
		.amdhsa_float_round_mode_16_64 0
		.amdhsa_float_denorm_mode_32 3
		.amdhsa_float_denorm_mode_16_64 3
		.amdhsa_dx10_clamp 1
		.amdhsa_ieee_mode 1
		.amdhsa_fp16_overflow 0
		.amdhsa_workgroup_processor_mode 1
		.amdhsa_memory_ordered 1
		.amdhsa_forward_progress 0
		.amdhsa_shared_vgpr_count 0
		.amdhsa_exception_fp_ieee_invalid_op 0
		.amdhsa_exception_fp_denorm_src 0
		.amdhsa_exception_fp_ieee_div_zero 0
		.amdhsa_exception_fp_ieee_overflow 0
		.amdhsa_exception_fp_ieee_underflow 0
		.amdhsa_exception_fp_ieee_inexact 0
		.amdhsa_exception_int_div_zero 0
	.end_amdhsa_kernel
	.section	.text._Z6kernelI6reduceILN6hipcub20BlockReduceAlgorithmE0EEaLj256ELj4ELj100EEvPKT0_PS4_,"axG",@progbits,_Z6kernelI6reduceILN6hipcub20BlockReduceAlgorithmE0EEaLj256ELj4ELj100EEvPKT0_PS4_,comdat
.Lfunc_end59:
	.size	_Z6kernelI6reduceILN6hipcub20BlockReduceAlgorithmE0EEaLj256ELj4ELj100EEvPKT0_PS4_, .Lfunc_end59-_Z6kernelI6reduceILN6hipcub20BlockReduceAlgorithmE0EEaLj256ELj4ELj100EEvPKT0_PS4_
                                        ; -- End function
	.section	.AMDGPU.csdata,"",@progbits
; Kernel info:
; codeLenInByte = 628
; NumSgprs: 18
; NumVgprs: 10
; ScratchSize: 0
; MemoryBound: 0
; FloatMode: 240
; IeeeMode: 1
; LDSByteSize: 8 bytes/workgroup (compile time only)
; SGPRBlocks: 2
; VGPRBlocks: 1
; NumSGPRsForWavesPerEU: 18
; NumVGPRsForWavesPerEU: 10
; Occupancy: 16
; WaveLimiterHint : 0
; COMPUTE_PGM_RSRC2:SCRATCH_EN: 0
; COMPUTE_PGM_RSRC2:USER_SGPR: 15
; COMPUTE_PGM_RSRC2:TRAP_HANDLER: 0
; COMPUTE_PGM_RSRC2:TGID_X_EN: 1
; COMPUTE_PGM_RSRC2:TGID_Y_EN: 0
; COMPUTE_PGM_RSRC2:TGID_Z_EN: 0
; COMPUTE_PGM_RSRC2:TIDIG_COMP_CNT: 0
	.section	.text._Z6kernelI6reduceILN6hipcub20BlockReduceAlgorithmE0EEaLj256ELj8ELj100EEvPKT0_PS4_,"axG",@progbits,_Z6kernelI6reduceILN6hipcub20BlockReduceAlgorithmE0EEaLj256ELj8ELj100EEvPKT0_PS4_,comdat
	.protected	_Z6kernelI6reduceILN6hipcub20BlockReduceAlgorithmE0EEaLj256ELj8ELj100EEvPKT0_PS4_ ; -- Begin function _Z6kernelI6reduceILN6hipcub20BlockReduceAlgorithmE0EEaLj256ELj8ELj100EEvPKT0_PS4_
	.globl	_Z6kernelI6reduceILN6hipcub20BlockReduceAlgorithmE0EEaLj256ELj8ELj100EEvPKT0_PS4_
	.p2align	8
	.type	_Z6kernelI6reduceILN6hipcub20BlockReduceAlgorithmE0EEaLj256ELj8ELj100EEvPKT0_PS4_,@function
_Z6kernelI6reduceILN6hipcub20BlockReduceAlgorithmE0EEaLj256ELj8ELj100EEvPKT0_PS4_: ; @_Z6kernelI6reduceILN6hipcub20BlockReduceAlgorithmE0EEaLj256ELj8ELj100EEvPKT0_PS4_
; %bb.0:
	s_clause 0x1
	s_load_b32 s4, s[0:1], 0x1c
	s_load_b128 s[0:3], s[0:1], 0x0
	v_mbcnt_lo_u32_b32 v8, -1, 0
	s_delay_alu instid0(VALU_DEP_1) | instskip(SKIP_3) | instid1(SALU_CYCLE_1)
	v_dual_mov_b32 v4, 0x7c :: v_dual_and_b32 v3, 7, v8
	v_cmp_eq_u32_e32 vcc_lo, 0, v8
	s_waitcnt lgkmcnt(0)
	s_and_b32 s4, s4, 0xffff
	s_mul_i32 s4, s15, s4
	s_delay_alu instid0(SALU_CYCLE_1) | instskip(SKIP_3) | instid1(VALU_DEP_1)
	v_add_lshl_u32 v1, s4, v0, 3
	global_load_b64 v[1:2], v1, s[0:1]
	v_cmp_gt_u32_e64 s0, 6, v3
	s_movk_i32 s1, 0x64
	v_cndmask_b32_e64 v5, 0, 1, s0
	v_cmp_gt_u32_e64 s0, 4, v3
	s_delay_alu instid0(VALU_DEP_2) | instskip(NEXT) | instid1(VALU_DEP_2)
	v_lshlrev_b32_e32 v9, 1, v5
	v_cndmask_b32_e64 v6, 0, 1, s0
	v_cmp_ne_u32_e64 s0, 7, v3
	v_lshrrev_b32_e32 v5, 5, v0
	s_delay_alu instid0(VALU_DEP_3) | instskip(NEXT) | instid1(VALU_DEP_3)
	v_lshlrev_b32_e32 v10, 2, v6
	v_add_co_ci_u32_e64 v7, s0, 0, v8, s0
	v_cmp_gt_u32_e64 s0, 32, v0
	s_delay_alu instid0(VALU_DEP_2)
	v_lshlrev_b32_e32 v6, 2, v7
	v_add_lshl_u32 v7, v9, v8, 2
	v_add_lshl_u32 v8, v10, v8, 2
	s_branch .LBB60_2
.LBB60_1:                               ;   in Loop: Header=BB60_2 Depth=1
	s_or_b32 exec_lo, exec_lo, s4
	s_delay_alu instid0(VALU_DEP_1) | instskip(SKIP_1) | instid1(SALU_CYCLE_1)
	v_perm_b32 v1, v9, v1, 0x3020104
	s_add_i32 s1, s1, -1
	s_cmp_eq_u32 s1, 0
	s_cbranch_scc1 .LBB60_6
.LBB60_2:                               ; =>This Inner Loop Header: Depth=1
	s_waitcnt vmcnt(0)
	v_lshrrev_b32_e32 v9, 8, v1
	v_lshrrev_b32_e32 v10, 16, v1
	v_lshrrev_b32_e32 v11, 24, v1
	s_delay_alu instid0(VALU_DEP_3) | instskip(NEXT) | instid1(VALU_DEP_1)
	v_add_nc_u16 v9, v9, v1
	v_add_nc_u16 v9, v9, v10
	v_lshrrev_b32_e32 v10, 8, v2
	s_delay_alu instid0(VALU_DEP_2) | instskip(SKIP_1) | instid1(VALU_DEP_2)
	v_add_nc_u16 v9, v9, v11
	v_lshrrev_b32_e32 v11, 16, v2
	v_add_nc_u16 v9, v9, v2
	s_delay_alu instid0(VALU_DEP_1) | instskip(SKIP_1) | instid1(VALU_DEP_2)
	v_add_nc_u16 v9, v9, v10
	v_lshrrev_b32_e32 v10, 24, v2
	v_add_nc_u16 v9, v9, v11
	s_delay_alu instid0(VALU_DEP_1) | instskip(NEXT) | instid1(VALU_DEP_1)
	v_add_nc_u16 v9, v9, v10
	v_and_b32_e32 v10, 0xff, v9
	s_delay_alu instid0(VALU_DEP_1) | instskip(NEXT) | instid1(VALU_DEP_1)
	v_mov_b32_dpp v10, v10 quad_perm:[1,0,3,2] row_mask:0xf bank_mask:0xf
	v_add_nc_u16 v9, v9, v10
	s_delay_alu instid0(VALU_DEP_1) | instskip(NEXT) | instid1(VALU_DEP_1)
	v_and_b32_e32 v10, 0xff, v9
	v_mov_b32_dpp v10, v10 quad_perm:[2,3,0,1] row_mask:0xf bank_mask:0xf
	s_delay_alu instid0(VALU_DEP_1) | instskip(NEXT) | instid1(VALU_DEP_1)
	v_add_nc_u16 v9, v9, v10
	v_and_b32_e32 v10, 0xff, v9
	s_delay_alu instid0(VALU_DEP_1) | instskip(NEXT) | instid1(VALU_DEP_1)
	v_mov_b32_dpp v10, v10 row_ror:4 row_mask:0xf bank_mask:0xf
	v_add_nc_u16 v9, v9, v10
	s_delay_alu instid0(VALU_DEP_1) | instskip(NEXT) | instid1(VALU_DEP_1)
	v_and_b32_e32 v10, 0xff, v9
	v_mov_b32_dpp v10, v10 row_ror:8 row_mask:0xf bank_mask:0xf
	s_delay_alu instid0(VALU_DEP_1) | instskip(NEXT) | instid1(VALU_DEP_1)
	v_add_nc_u16 v9, v9, v10
	v_and_b32_e32 v10, 0xff, v9
	ds_swizzle_b32 v10, v10 offset:swizzle(BROADCAST,32,15)
	s_waitcnt lgkmcnt(0)
	v_add_nc_u16 v9, v9, v10
	s_delay_alu instid0(VALU_DEP_1)
	v_and_b32_e32 v9, 0xff, v9
	ds_bpermute_b32 v9, v4, v9
	s_and_saveexec_b32 s4, vcc_lo
	s_cbranch_execz .LBB60_4
; %bb.3:                                ;   in Loop: Header=BB60_2 Depth=1
	s_waitcnt lgkmcnt(0)
	ds_store_b8 v5, v9
.LBB60_4:                               ;   in Loop: Header=BB60_2 Depth=1
	s_or_b32 exec_lo, exec_lo, s4
	s_waitcnt lgkmcnt(0)
	s_barrier
	buffer_gl0_inv
	s_and_saveexec_b32 s4, s0
	s_cbranch_execz .LBB60_1
; %bb.5:                                ;   in Loop: Header=BB60_2 Depth=1
	ds_load_u8 v9, v3
	s_waitcnt lgkmcnt(0)
	v_and_b32_e32 v10, 0xff, v9
	ds_bpermute_b32 v10, v6, v10
	s_waitcnt lgkmcnt(0)
	v_add_nc_u16 v9, v9, v10
	s_delay_alu instid0(VALU_DEP_1) | instskip(SKIP_3) | instid1(VALU_DEP_1)
	v_and_b32_e32 v10, 0xff, v9
	ds_bpermute_b32 v10, v7, v10
	s_waitcnt lgkmcnt(0)
	v_add_nc_u16 v9, v9, v10
	v_and_b32_e32 v10, 0xff, v9
	ds_bpermute_b32 v10, v8, v10
	s_waitcnt lgkmcnt(0)
	v_add_nc_u16 v9, v9, v10
	s_branch .LBB60_1
.LBB60_6:
	s_mov_b32 s0, exec_lo
	v_cmpx_eq_u32_e32 0, v0
	s_cbranch_execz .LBB60_8
; %bb.7:
	v_mov_b32_e32 v0, s15
	global_store_b8 v0, v9, s[2:3]
.LBB60_8:
	s_nop 0
	s_sendmsg sendmsg(MSG_DEALLOC_VGPRS)
	s_endpgm
	.section	.rodata,"a",@progbits
	.p2align	6, 0x0
	.amdhsa_kernel _Z6kernelI6reduceILN6hipcub20BlockReduceAlgorithmE0EEaLj256ELj8ELj100EEvPKT0_PS4_
		.amdhsa_group_segment_fixed_size 8
		.amdhsa_private_segment_fixed_size 0
		.amdhsa_kernarg_size 272
		.amdhsa_user_sgpr_count 15
		.amdhsa_user_sgpr_dispatch_ptr 0
		.amdhsa_user_sgpr_queue_ptr 0
		.amdhsa_user_sgpr_kernarg_segment_ptr 1
		.amdhsa_user_sgpr_dispatch_id 0
		.amdhsa_user_sgpr_private_segment_size 0
		.amdhsa_wavefront_size32 1
		.amdhsa_uses_dynamic_stack 0
		.amdhsa_enable_private_segment 0
		.amdhsa_system_sgpr_workgroup_id_x 1
		.amdhsa_system_sgpr_workgroup_id_y 0
		.amdhsa_system_sgpr_workgroup_id_z 0
		.amdhsa_system_sgpr_workgroup_info 0
		.amdhsa_system_vgpr_workitem_id 0
		.amdhsa_next_free_vgpr 12
		.amdhsa_next_free_sgpr 16
		.amdhsa_reserve_vcc 1
		.amdhsa_float_round_mode_32 0
		.amdhsa_float_round_mode_16_64 0
		.amdhsa_float_denorm_mode_32 3
		.amdhsa_float_denorm_mode_16_64 3
		.amdhsa_dx10_clamp 1
		.amdhsa_ieee_mode 1
		.amdhsa_fp16_overflow 0
		.amdhsa_workgroup_processor_mode 1
		.amdhsa_memory_ordered 1
		.amdhsa_forward_progress 0
		.amdhsa_shared_vgpr_count 0
		.amdhsa_exception_fp_ieee_invalid_op 0
		.amdhsa_exception_fp_denorm_src 0
		.amdhsa_exception_fp_ieee_div_zero 0
		.amdhsa_exception_fp_ieee_overflow 0
		.amdhsa_exception_fp_ieee_underflow 0
		.amdhsa_exception_fp_ieee_inexact 0
		.amdhsa_exception_int_div_zero 0
	.end_amdhsa_kernel
	.section	.text._Z6kernelI6reduceILN6hipcub20BlockReduceAlgorithmE0EEaLj256ELj8ELj100EEvPKT0_PS4_,"axG",@progbits,_Z6kernelI6reduceILN6hipcub20BlockReduceAlgorithmE0EEaLj256ELj8ELj100EEvPKT0_PS4_,comdat
.Lfunc_end60:
	.size	_Z6kernelI6reduceILN6hipcub20BlockReduceAlgorithmE0EEaLj256ELj8ELj100EEvPKT0_PS4_, .Lfunc_end60-_Z6kernelI6reduceILN6hipcub20BlockReduceAlgorithmE0EEaLj256ELj8ELj100EEvPKT0_PS4_
                                        ; -- End function
	.section	.AMDGPU.csdata,"",@progbits
; Kernel info:
; codeLenInByte = 680
; NumSgprs: 18
; NumVgprs: 12
; ScratchSize: 0
; MemoryBound: 0
; FloatMode: 240
; IeeeMode: 1
; LDSByteSize: 8 bytes/workgroup (compile time only)
; SGPRBlocks: 2
; VGPRBlocks: 1
; NumSGPRsForWavesPerEU: 18
; NumVGPRsForWavesPerEU: 12
; Occupancy: 16
; WaveLimiterHint : 0
; COMPUTE_PGM_RSRC2:SCRATCH_EN: 0
; COMPUTE_PGM_RSRC2:USER_SGPR: 15
; COMPUTE_PGM_RSRC2:TRAP_HANDLER: 0
; COMPUTE_PGM_RSRC2:TGID_X_EN: 1
; COMPUTE_PGM_RSRC2:TGID_Y_EN: 0
; COMPUTE_PGM_RSRC2:TGID_Z_EN: 0
; COMPUTE_PGM_RSRC2:TIDIG_COMP_CNT: 0
	.section	.text._Z6kernelI6reduceILN6hipcub20BlockReduceAlgorithmE0EEaLj256ELj11ELj100EEvPKT0_PS4_,"axG",@progbits,_Z6kernelI6reduceILN6hipcub20BlockReduceAlgorithmE0EEaLj256ELj11ELj100EEvPKT0_PS4_,comdat
	.protected	_Z6kernelI6reduceILN6hipcub20BlockReduceAlgorithmE0EEaLj256ELj11ELj100EEvPKT0_PS4_ ; -- Begin function _Z6kernelI6reduceILN6hipcub20BlockReduceAlgorithmE0EEaLj256ELj11ELj100EEvPKT0_PS4_
	.globl	_Z6kernelI6reduceILN6hipcub20BlockReduceAlgorithmE0EEaLj256ELj11ELj100EEvPKT0_PS4_
	.p2align	8
	.type	_Z6kernelI6reduceILN6hipcub20BlockReduceAlgorithmE0EEaLj256ELj11ELj100EEvPKT0_PS4_,@function
_Z6kernelI6reduceILN6hipcub20BlockReduceAlgorithmE0EEaLj256ELj11ELj100EEvPKT0_PS4_: ; @_Z6kernelI6reduceILN6hipcub20BlockReduceAlgorithmE0EEaLj256ELj11ELj100EEvPKT0_PS4_
; %bb.0:
	s_load_b32 s2, s[0:1], 0x1c
	v_mbcnt_lo_u32_b32 v15, -1, 0
	s_delay_alu instid0(VALU_DEP_1) | instskip(SKIP_2) | instid1(SALU_CYCLE_1)
	v_cmp_eq_u32_e32 vcc_lo, 0, v15
	s_waitcnt lgkmcnt(0)
	s_and_b32 s2, s2, 0xffff
	v_mad_u64_u32 v[1:2], null, s15, s2, v[0:1]
	s_load_b128 s[0:3], s[0:1], 0x0
	s_delay_alu instid0(VALU_DEP_1) | instskip(NEXT) | instid1(VALU_DEP_1)
	v_mul_lo_u32 v1, v1, 11
	v_add_nc_u32_e32 v2, 1, v1
	v_add_nc_u32_e32 v4, 3, v1
	;; [unrolled: 1-line block ×7, first 2 shown]
	s_waitcnt lgkmcnt(0)
	s_clause 0x7
	global_load_u8 v9, v2, s[0:1]
	global_load_u8 v10, v4, s[0:1]
	;; [unrolled: 1-line block ×8, first 2 shown]
	v_dual_mov_b32 v5, 0x7c :: v_dual_add_nc_u32 v2, 8, v1
	v_add_nc_u32_e32 v3, 9, v1
	v_add_nc_u32_e32 v4, 10, v1
	s_clause 0x2
	global_load_u8 v1, v2, s[0:1]
	global_load_u8 v2, v3, s[0:1]
	;; [unrolled: 1-line block ×3, first 2 shown]
	v_and_b32_e32 v4, 7, v15
	v_cmp_gt_u32_e64 s0, 32, v0
	v_lshrrev_b32_e32 v6, 5, v0
	s_delay_alu instid0(VALU_DEP_3) | instskip(NEXT) | instid1(VALU_DEP_1)
	v_cmp_ne_u32_e64 s1, 7, v4
	v_add_co_ci_u32_e64 v16, s1, 0, v15, s1
	v_cmp_gt_u32_e64 s1, 6, v4
	s_delay_alu instid0(VALU_DEP_1) | instskip(SKIP_1) | instid1(VALU_DEP_2)
	v_cndmask_b32_e64 v17, 0, 1, s1
	v_cmp_gt_u32_e64 s1, 4, v4
	v_lshlrev_b32_e32 v17, 1, v17
	s_delay_alu instid0(VALU_DEP_2)
	v_cndmask_b32_e64 v18, 0, 1, s1
	s_movk_i32 s1, 0x64
	s_waitcnt vmcnt(10)
	v_lshlrev_b16 v9, 8, v9
	s_waitcnt vmcnt(9)
	v_lshlrev_b16 v10, 8, v10
	;; [unrolled: 2-line block ×4, first 2 shown]
	s_waitcnt vmcnt(6)
	v_or_b32_e32 v9, v12, v9
	s_waitcnt vmcnt(5)
	v_or_b32_e32 v10, v13, v10
	;; [unrolled: 2-line block ×4, first 2 shown]
	v_lshlrev_b32_e32 v12, 2, v18
	v_and_b32_e32 v13, 0xffff, v9
	v_lshlrev_b32_e32 v10, 16, v10
	v_and_b32_e32 v11, 0xffff, v11
	v_lshlrev_b32_e32 v14, 16, v7
	v_lshlrev_b32_e32 v7, 2, v16
	v_add_lshl_u32 v8, v17, v15, 2
	v_add_lshl_u32 v9, v12, v15, 2
	v_or_b32_e32 v10, v13, v10
	v_or_b32_e32 v11, v11, v14
	s_branch .LBB61_2
.LBB61_1:                               ;   in Loop: Header=BB61_2 Depth=1
	s_or_b32 exec_lo, exec_lo, s4
	s_delay_alu instid0(VALU_DEP_1) | instskip(SKIP_1) | instid1(SALU_CYCLE_1)
	v_perm_b32 v10, v12, v10, 0x3020104
	s_add_i32 s1, s1, -1
	s_cmp_eq_u32 s1, 0
	s_cbranch_scc1 .LBB61_6
.LBB61_2:                               ; =>This Inner Loop Header: Depth=1
	s_delay_alu instid0(VALU_DEP_1) | instskip(SKIP_2) | instid1(VALU_DEP_3)
	v_lshrrev_b32_e32 v12, 8, v10
	v_lshrrev_b32_e32 v13, 16, v10
	v_lshrrev_b32_e32 v14, 24, v10
	v_add_nc_u16 v12, v12, v10
	s_delay_alu instid0(VALU_DEP_1) | instskip(SKIP_1) | instid1(VALU_DEP_2)
	v_add_nc_u16 v12, v12, v13
	v_lshrrev_b32_e32 v13, 8, v11
	v_add_nc_u16 v12, v12, v14
	v_lshrrev_b32_e32 v14, 16, v11
	s_delay_alu instid0(VALU_DEP_2) | instskip(NEXT) | instid1(VALU_DEP_1)
	v_add_nc_u16 v12, v12, v11
	v_add_nc_u16 v12, v12, v13
	v_lshrrev_b32_e32 v13, 24, v11
	s_delay_alu instid0(VALU_DEP_2) | instskip(NEXT) | instid1(VALU_DEP_1)
	v_add_nc_u16 v12, v12, v14
	v_add_nc_u16 v12, v12, v13
	s_waitcnt vmcnt(2)
	s_delay_alu instid0(VALU_DEP_1) | instskip(SKIP_1) | instid1(VALU_DEP_1)
	v_add_nc_u16 v12, v12, v1
	s_waitcnt vmcnt(1)
	v_add_nc_u16 v12, v12, v2
	s_waitcnt vmcnt(0)
	s_delay_alu instid0(VALU_DEP_1) | instskip(NEXT) | instid1(VALU_DEP_1)
	v_add_nc_u16 v12, v12, v3
	v_and_b32_e32 v13, 0xff, v12
	s_delay_alu instid0(VALU_DEP_1) | instskip(NEXT) | instid1(VALU_DEP_1)
	v_mov_b32_dpp v13, v13 quad_perm:[1,0,3,2] row_mask:0xf bank_mask:0xf
	v_add_nc_u16 v12, v12, v13
	s_delay_alu instid0(VALU_DEP_1) | instskip(NEXT) | instid1(VALU_DEP_1)
	v_and_b32_e32 v13, 0xff, v12
	v_mov_b32_dpp v13, v13 quad_perm:[2,3,0,1] row_mask:0xf bank_mask:0xf
	s_delay_alu instid0(VALU_DEP_1) | instskip(NEXT) | instid1(VALU_DEP_1)
	v_add_nc_u16 v12, v12, v13
	v_and_b32_e32 v13, 0xff, v12
	s_delay_alu instid0(VALU_DEP_1) | instskip(NEXT) | instid1(VALU_DEP_1)
	v_mov_b32_dpp v13, v13 row_ror:4 row_mask:0xf bank_mask:0xf
	v_add_nc_u16 v12, v12, v13
	s_delay_alu instid0(VALU_DEP_1) | instskip(NEXT) | instid1(VALU_DEP_1)
	v_and_b32_e32 v13, 0xff, v12
	v_mov_b32_dpp v13, v13 row_ror:8 row_mask:0xf bank_mask:0xf
	s_delay_alu instid0(VALU_DEP_1) | instskip(NEXT) | instid1(VALU_DEP_1)
	v_add_nc_u16 v12, v12, v13
	v_and_b32_e32 v13, 0xff, v12
	ds_swizzle_b32 v13, v13 offset:swizzle(BROADCAST,32,15)
	s_waitcnt lgkmcnt(0)
	v_add_nc_u16 v12, v12, v13
	s_delay_alu instid0(VALU_DEP_1)
	v_and_b32_e32 v12, 0xff, v12
	ds_bpermute_b32 v12, v5, v12
	s_and_saveexec_b32 s4, vcc_lo
	s_cbranch_execz .LBB61_4
; %bb.3:                                ;   in Loop: Header=BB61_2 Depth=1
	s_waitcnt lgkmcnt(0)
	ds_store_b8 v6, v12
.LBB61_4:                               ;   in Loop: Header=BB61_2 Depth=1
	s_or_b32 exec_lo, exec_lo, s4
	s_waitcnt lgkmcnt(0)
	s_barrier
	buffer_gl0_inv
	s_and_saveexec_b32 s4, s0
	s_cbranch_execz .LBB61_1
; %bb.5:                                ;   in Loop: Header=BB61_2 Depth=1
	ds_load_u8 v12, v4
	s_waitcnt lgkmcnt(0)
	v_and_b32_e32 v13, 0xff, v12
	ds_bpermute_b32 v13, v7, v13
	s_waitcnt lgkmcnt(0)
	v_add_nc_u16 v12, v12, v13
	s_delay_alu instid0(VALU_DEP_1) | instskip(SKIP_3) | instid1(VALU_DEP_1)
	v_and_b32_e32 v13, 0xff, v12
	ds_bpermute_b32 v13, v8, v13
	s_waitcnt lgkmcnt(0)
	v_add_nc_u16 v12, v12, v13
	v_and_b32_e32 v13, 0xff, v12
	ds_bpermute_b32 v13, v9, v13
	s_waitcnt lgkmcnt(0)
	v_add_nc_u16 v12, v12, v13
	s_branch .LBB61_1
.LBB61_6:
	s_mov_b32 s0, exec_lo
	v_cmpx_eq_u32_e32 0, v0
	s_cbranch_execz .LBB61_8
; %bb.7:
	v_mov_b32_e32 v0, s15
	global_store_b8 v0, v12, s[2:3]
.LBB61_8:
	s_nop 0
	s_sendmsg sendmsg(MSG_DEALLOC_VGPRS)
	s_endpgm
	.section	.rodata,"a",@progbits
	.p2align	6, 0x0
	.amdhsa_kernel _Z6kernelI6reduceILN6hipcub20BlockReduceAlgorithmE0EEaLj256ELj11ELj100EEvPKT0_PS4_
		.amdhsa_group_segment_fixed_size 8
		.amdhsa_private_segment_fixed_size 0
		.amdhsa_kernarg_size 272
		.amdhsa_user_sgpr_count 15
		.amdhsa_user_sgpr_dispatch_ptr 0
		.amdhsa_user_sgpr_queue_ptr 0
		.amdhsa_user_sgpr_kernarg_segment_ptr 1
		.amdhsa_user_sgpr_dispatch_id 0
		.amdhsa_user_sgpr_private_segment_size 0
		.amdhsa_wavefront_size32 1
		.amdhsa_uses_dynamic_stack 0
		.amdhsa_enable_private_segment 0
		.amdhsa_system_sgpr_workgroup_id_x 1
		.amdhsa_system_sgpr_workgroup_id_y 0
		.amdhsa_system_sgpr_workgroup_id_z 0
		.amdhsa_system_sgpr_workgroup_info 0
		.amdhsa_system_vgpr_workitem_id 0
		.amdhsa_next_free_vgpr 19
		.amdhsa_next_free_sgpr 16
		.amdhsa_reserve_vcc 1
		.amdhsa_float_round_mode_32 0
		.amdhsa_float_round_mode_16_64 0
		.amdhsa_float_denorm_mode_32 3
		.amdhsa_float_denorm_mode_16_64 3
		.amdhsa_dx10_clamp 1
		.amdhsa_ieee_mode 1
		.amdhsa_fp16_overflow 0
		.amdhsa_workgroup_processor_mode 1
		.amdhsa_memory_ordered 1
		.amdhsa_forward_progress 0
		.amdhsa_shared_vgpr_count 0
		.amdhsa_exception_fp_ieee_invalid_op 0
		.amdhsa_exception_fp_denorm_src 0
		.amdhsa_exception_fp_ieee_div_zero 0
		.amdhsa_exception_fp_ieee_overflow 0
		.amdhsa_exception_fp_ieee_underflow 0
		.amdhsa_exception_fp_ieee_inexact 0
		.amdhsa_exception_int_div_zero 0
	.end_amdhsa_kernel
	.section	.text._Z6kernelI6reduceILN6hipcub20BlockReduceAlgorithmE0EEaLj256ELj11ELj100EEvPKT0_PS4_,"axG",@progbits,_Z6kernelI6reduceILN6hipcub20BlockReduceAlgorithmE0EEaLj256ELj11ELj100EEvPKT0_PS4_,comdat
.Lfunc_end61:
	.size	_Z6kernelI6reduceILN6hipcub20BlockReduceAlgorithmE0EEaLj256ELj11ELj100EEvPKT0_PS4_, .Lfunc_end61-_Z6kernelI6reduceILN6hipcub20BlockReduceAlgorithmE0EEaLj256ELj11ELj100EEvPKT0_PS4_
                                        ; -- End function
	.section	.AMDGPU.csdata,"",@progbits
; Kernel info:
; codeLenInByte = 964
; NumSgprs: 18
; NumVgprs: 19
; ScratchSize: 0
; MemoryBound: 0
; FloatMode: 240
; IeeeMode: 1
; LDSByteSize: 8 bytes/workgroup (compile time only)
; SGPRBlocks: 2
; VGPRBlocks: 2
; NumSGPRsForWavesPerEU: 18
; NumVGPRsForWavesPerEU: 19
; Occupancy: 16
; WaveLimiterHint : 0
; COMPUTE_PGM_RSRC2:SCRATCH_EN: 0
; COMPUTE_PGM_RSRC2:USER_SGPR: 15
; COMPUTE_PGM_RSRC2:TRAP_HANDLER: 0
; COMPUTE_PGM_RSRC2:TGID_X_EN: 1
; COMPUTE_PGM_RSRC2:TGID_Y_EN: 0
; COMPUTE_PGM_RSRC2:TGID_Z_EN: 0
; COMPUTE_PGM_RSRC2:TIDIG_COMP_CNT: 0
	.section	.text._Z6kernelI6reduceILN6hipcub20BlockReduceAlgorithmE0EEaLj256ELj16ELj100EEvPKT0_PS4_,"axG",@progbits,_Z6kernelI6reduceILN6hipcub20BlockReduceAlgorithmE0EEaLj256ELj16ELj100EEvPKT0_PS4_,comdat
	.protected	_Z6kernelI6reduceILN6hipcub20BlockReduceAlgorithmE0EEaLj256ELj16ELj100EEvPKT0_PS4_ ; -- Begin function _Z6kernelI6reduceILN6hipcub20BlockReduceAlgorithmE0EEaLj256ELj16ELj100EEvPKT0_PS4_
	.globl	_Z6kernelI6reduceILN6hipcub20BlockReduceAlgorithmE0EEaLj256ELj16ELj100EEvPKT0_PS4_
	.p2align	8
	.type	_Z6kernelI6reduceILN6hipcub20BlockReduceAlgorithmE0EEaLj256ELj16ELj100EEvPKT0_PS4_,@function
_Z6kernelI6reduceILN6hipcub20BlockReduceAlgorithmE0EEaLj256ELj16ELj100EEvPKT0_PS4_: ; @_Z6kernelI6reduceILN6hipcub20BlockReduceAlgorithmE0EEaLj256ELj16ELj100EEvPKT0_PS4_
; %bb.0:
	s_clause 0x1
	s_load_b32 s4, s[0:1], 0x1c
	s_load_b128 s[0:3], s[0:1], 0x0
	v_mbcnt_lo_u32_b32 v10, -1, 0
	s_delay_alu instid0(VALU_DEP_1) | instskip(SKIP_3) | instid1(SALU_CYCLE_1)
	v_dual_mov_b32 v6, 0x7c :: v_dual_and_b32 v5, 7, v10
	v_cmp_eq_u32_e32 vcc_lo, 0, v10
	s_waitcnt lgkmcnt(0)
	s_and_b32 s4, s4, 0xffff
	s_mul_i32 s4, s15, s4
	s_delay_alu instid0(SALU_CYCLE_1) | instskip(SKIP_3) | instid1(VALU_DEP_1)
	v_add_lshl_u32 v1, s4, v0, 4
	global_load_b128 v[1:4], v1, s[0:1]
	v_cmp_gt_u32_e64 s0, 6, v5
	s_movk_i32 s1, 0x64
	v_cndmask_b32_e64 v7, 0, 1, s0
	v_cmp_gt_u32_e64 s0, 4, v5
	s_delay_alu instid0(VALU_DEP_2) | instskip(NEXT) | instid1(VALU_DEP_2)
	v_lshlrev_b32_e32 v11, 1, v7
	v_cndmask_b32_e64 v8, 0, 1, s0
	v_cmp_ne_u32_e64 s0, 7, v5
	v_lshrrev_b32_e32 v7, 5, v0
	s_delay_alu instid0(VALU_DEP_3) | instskip(NEXT) | instid1(VALU_DEP_3)
	v_lshlrev_b32_e32 v12, 2, v8
	v_add_co_ci_u32_e64 v9, s0, 0, v10, s0
	v_cmp_gt_u32_e64 s0, 32, v0
	s_delay_alu instid0(VALU_DEP_2)
	v_lshlrev_b32_e32 v8, 2, v9
	v_add_lshl_u32 v9, v11, v10, 2
	v_add_lshl_u32 v10, v12, v10, 2
	s_branch .LBB62_2
.LBB62_1:                               ;   in Loop: Header=BB62_2 Depth=1
	s_or_b32 exec_lo, exec_lo, s4
	s_delay_alu instid0(VALU_DEP_1) | instskip(SKIP_1) | instid1(SALU_CYCLE_1)
	v_perm_b32 v1, v11, v1, 0x3020104
	s_add_i32 s1, s1, -1
	s_cmp_eq_u32 s1, 0
	s_cbranch_scc1 .LBB62_6
.LBB62_2:                               ; =>This Inner Loop Header: Depth=1
	s_waitcnt vmcnt(0)
	v_lshrrev_b32_e32 v11, 8, v1
	v_lshrrev_b32_e32 v12, 16, v1
	;; [unrolled: 1-line block ×3, first 2 shown]
	s_delay_alu instid0(VALU_DEP_3) | instskip(NEXT) | instid1(VALU_DEP_1)
	v_add_nc_u16 v11, v11, v1
	v_add_nc_u16 v11, v11, v12
	v_lshrrev_b32_e32 v12, 8, v2
	s_delay_alu instid0(VALU_DEP_2) | instskip(SKIP_1) | instid1(VALU_DEP_2)
	v_add_nc_u16 v11, v11, v13
	v_lshrrev_b32_e32 v13, 16, v2
	v_add_nc_u16 v11, v11, v2
	s_delay_alu instid0(VALU_DEP_1) | instskip(SKIP_1) | instid1(VALU_DEP_2)
	v_add_nc_u16 v11, v11, v12
	v_lshrrev_b32_e32 v12, 24, v2
	v_add_nc_u16 v11, v11, v13
	v_lshrrev_b32_e32 v13, 16, v3
	s_delay_alu instid0(VALU_DEP_2) | instskip(SKIP_1) | instid1(VALU_DEP_2)
	v_add_nc_u16 v11, v11, v12
	v_lshrrev_b32_e32 v12, 8, v3
	v_add_nc_u16 v11, v11, v3
	s_delay_alu instid0(VALU_DEP_1) | instskip(SKIP_1) | instid1(VALU_DEP_2)
	v_add_nc_u16 v11, v11, v12
	v_lshrrev_b32_e32 v12, 24, v3
	;; [unrolled: 9-line block ×3, first 2 shown]
	v_add_nc_u16 v11, v11, v13
	s_delay_alu instid0(VALU_DEP_1) | instskip(NEXT) | instid1(VALU_DEP_1)
	v_add_nc_u16 v11, v11, v12
	v_and_b32_e32 v12, 0xff, v11
	s_delay_alu instid0(VALU_DEP_1) | instskip(NEXT) | instid1(VALU_DEP_1)
	v_mov_b32_dpp v12, v12 quad_perm:[1,0,3,2] row_mask:0xf bank_mask:0xf
	v_add_nc_u16 v11, v11, v12
	s_delay_alu instid0(VALU_DEP_1) | instskip(NEXT) | instid1(VALU_DEP_1)
	v_and_b32_e32 v12, 0xff, v11
	v_mov_b32_dpp v12, v12 quad_perm:[2,3,0,1] row_mask:0xf bank_mask:0xf
	s_delay_alu instid0(VALU_DEP_1) | instskip(NEXT) | instid1(VALU_DEP_1)
	v_add_nc_u16 v11, v11, v12
	v_and_b32_e32 v12, 0xff, v11
	s_delay_alu instid0(VALU_DEP_1) | instskip(NEXT) | instid1(VALU_DEP_1)
	v_mov_b32_dpp v12, v12 row_ror:4 row_mask:0xf bank_mask:0xf
	v_add_nc_u16 v11, v11, v12
	s_delay_alu instid0(VALU_DEP_1) | instskip(NEXT) | instid1(VALU_DEP_1)
	v_and_b32_e32 v12, 0xff, v11
	v_mov_b32_dpp v12, v12 row_ror:8 row_mask:0xf bank_mask:0xf
	s_delay_alu instid0(VALU_DEP_1) | instskip(NEXT) | instid1(VALU_DEP_1)
	v_add_nc_u16 v11, v11, v12
	v_and_b32_e32 v12, 0xff, v11
	ds_swizzle_b32 v12, v12 offset:swizzle(BROADCAST,32,15)
	s_waitcnt lgkmcnt(0)
	v_add_nc_u16 v11, v11, v12
	s_delay_alu instid0(VALU_DEP_1)
	v_and_b32_e32 v11, 0xff, v11
	ds_bpermute_b32 v11, v6, v11
	s_and_saveexec_b32 s4, vcc_lo
	s_cbranch_execz .LBB62_4
; %bb.3:                                ;   in Loop: Header=BB62_2 Depth=1
	s_waitcnt lgkmcnt(0)
	ds_store_b8 v7, v11
.LBB62_4:                               ;   in Loop: Header=BB62_2 Depth=1
	s_or_b32 exec_lo, exec_lo, s4
	s_waitcnt lgkmcnt(0)
	s_barrier
	buffer_gl0_inv
	s_and_saveexec_b32 s4, s0
	s_cbranch_execz .LBB62_1
; %bb.5:                                ;   in Loop: Header=BB62_2 Depth=1
	ds_load_u8 v11, v5
	s_waitcnt lgkmcnt(0)
	v_and_b32_e32 v12, 0xff, v11
	ds_bpermute_b32 v12, v8, v12
	s_waitcnt lgkmcnt(0)
	v_add_nc_u16 v11, v11, v12
	s_delay_alu instid0(VALU_DEP_1) | instskip(SKIP_3) | instid1(VALU_DEP_1)
	v_and_b32_e32 v12, 0xff, v11
	ds_bpermute_b32 v12, v9, v12
	s_waitcnt lgkmcnt(0)
	v_add_nc_u16 v11, v11, v12
	v_and_b32_e32 v12, 0xff, v11
	ds_bpermute_b32 v12, v10, v12
	s_waitcnt lgkmcnt(0)
	v_add_nc_u16 v11, v11, v12
	s_branch .LBB62_1
.LBB62_6:
	s_mov_b32 s0, exec_lo
	v_cmpx_eq_u32_e32 0, v0
	s_cbranch_execz .LBB62_8
; %bb.7:
	v_mov_b32_e32 v0, s15
	global_store_b8 v0, v11, s[2:3]
.LBB62_8:
	s_nop 0
	s_sendmsg sendmsg(MSG_DEALLOC_VGPRS)
	s_endpgm
	.section	.rodata,"a",@progbits
	.p2align	6, 0x0
	.amdhsa_kernel _Z6kernelI6reduceILN6hipcub20BlockReduceAlgorithmE0EEaLj256ELj16ELj100EEvPKT0_PS4_
		.amdhsa_group_segment_fixed_size 8
		.amdhsa_private_segment_fixed_size 0
		.amdhsa_kernarg_size 272
		.amdhsa_user_sgpr_count 15
		.amdhsa_user_sgpr_dispatch_ptr 0
		.amdhsa_user_sgpr_queue_ptr 0
		.amdhsa_user_sgpr_kernarg_segment_ptr 1
		.amdhsa_user_sgpr_dispatch_id 0
		.amdhsa_user_sgpr_private_segment_size 0
		.amdhsa_wavefront_size32 1
		.amdhsa_uses_dynamic_stack 0
		.amdhsa_enable_private_segment 0
		.amdhsa_system_sgpr_workgroup_id_x 1
		.amdhsa_system_sgpr_workgroup_id_y 0
		.amdhsa_system_sgpr_workgroup_id_z 0
		.amdhsa_system_sgpr_workgroup_info 0
		.amdhsa_system_vgpr_workitem_id 0
		.amdhsa_next_free_vgpr 14
		.amdhsa_next_free_sgpr 16
		.amdhsa_reserve_vcc 1
		.amdhsa_float_round_mode_32 0
		.amdhsa_float_round_mode_16_64 0
		.amdhsa_float_denorm_mode_32 3
		.amdhsa_float_denorm_mode_16_64 3
		.amdhsa_dx10_clamp 1
		.amdhsa_ieee_mode 1
		.amdhsa_fp16_overflow 0
		.amdhsa_workgroup_processor_mode 1
		.amdhsa_memory_ordered 1
		.amdhsa_forward_progress 0
		.amdhsa_shared_vgpr_count 0
		.amdhsa_exception_fp_ieee_invalid_op 0
		.amdhsa_exception_fp_denorm_src 0
		.amdhsa_exception_fp_ieee_div_zero 0
		.amdhsa_exception_fp_ieee_overflow 0
		.amdhsa_exception_fp_ieee_underflow 0
		.amdhsa_exception_fp_ieee_inexact 0
		.amdhsa_exception_int_div_zero 0
	.end_amdhsa_kernel
	.section	.text._Z6kernelI6reduceILN6hipcub20BlockReduceAlgorithmE0EEaLj256ELj16ELj100EEvPKT0_PS4_,"axG",@progbits,_Z6kernelI6reduceILN6hipcub20BlockReduceAlgorithmE0EEaLj256ELj16ELj100EEvPKT0_PS4_,comdat
.Lfunc_end62:
	.size	_Z6kernelI6reduceILN6hipcub20BlockReduceAlgorithmE0EEaLj256ELj16ELj100EEvPKT0_PS4_, .Lfunc_end62-_Z6kernelI6reduceILN6hipcub20BlockReduceAlgorithmE0EEaLj256ELj16ELj100EEvPKT0_PS4_
                                        ; -- End function
	.section	.AMDGPU.csdata,"",@progbits
; Kernel info:
; codeLenInByte = 784
; NumSgprs: 18
; NumVgprs: 14
; ScratchSize: 0
; MemoryBound: 0
; FloatMode: 240
; IeeeMode: 1
; LDSByteSize: 8 bytes/workgroup (compile time only)
; SGPRBlocks: 2
; VGPRBlocks: 1
; NumSGPRsForWavesPerEU: 18
; NumVGPRsForWavesPerEU: 14
; Occupancy: 16
; WaveLimiterHint : 0
; COMPUTE_PGM_RSRC2:SCRATCH_EN: 0
; COMPUTE_PGM_RSRC2:USER_SGPR: 15
; COMPUTE_PGM_RSRC2:TRAP_HANDLER: 0
; COMPUTE_PGM_RSRC2:TGID_X_EN: 1
; COMPUTE_PGM_RSRC2:TGID_Y_EN: 0
; COMPUTE_PGM_RSRC2:TGID_Z_EN: 0
; COMPUTE_PGM_RSRC2:TIDIG_COMP_CNT: 0
	.section	.text._Z6kernelI6reduceILN6hipcub20BlockReduceAlgorithmE0EEhLj256ELj1ELj100EEvPKT0_PS4_,"axG",@progbits,_Z6kernelI6reduceILN6hipcub20BlockReduceAlgorithmE0EEhLj256ELj1ELj100EEvPKT0_PS4_,comdat
	.protected	_Z6kernelI6reduceILN6hipcub20BlockReduceAlgorithmE0EEhLj256ELj1ELj100EEvPKT0_PS4_ ; -- Begin function _Z6kernelI6reduceILN6hipcub20BlockReduceAlgorithmE0EEhLj256ELj1ELj100EEvPKT0_PS4_
	.globl	_Z6kernelI6reduceILN6hipcub20BlockReduceAlgorithmE0EEhLj256ELj1ELj100EEvPKT0_PS4_
	.p2align	8
	.type	_Z6kernelI6reduceILN6hipcub20BlockReduceAlgorithmE0EEhLj256ELj1ELj100EEvPKT0_PS4_,@function
_Z6kernelI6reduceILN6hipcub20BlockReduceAlgorithmE0EEhLj256ELj1ELj100EEvPKT0_PS4_: ; @_Z6kernelI6reduceILN6hipcub20BlockReduceAlgorithmE0EEhLj256ELj1ELj100EEvPKT0_PS4_
; %bb.0:
	s_clause 0x1
	s_load_b32 s4, s[0:1], 0x1c
	s_load_b128 s[0:3], s[0:1], 0x0
	v_mbcnt_lo_u32_b32 v7, -1, 0
	s_delay_alu instid0(VALU_DEP_1) | instskip(SKIP_2) | instid1(SALU_CYCLE_1)
	v_cmp_eq_u32_e32 vcc_lo, 0, v7
	s_waitcnt lgkmcnt(0)
	s_and_b32 s4, s4, 0xffff
	v_mad_u64_u32 v[1:2], null, s15, s4, v[0:1]
	v_mov_b32_e32 v2, 0x7c
	global_load_u8 v3, v1, s[0:1]
	v_and_b32_e32 v1, 7, v7
	s_movk_i32 s1, 0x64
	s_delay_alu instid0(VALU_DEP_1) | instskip(NEXT) | instid1(VALU_DEP_1)
	v_cmp_gt_u32_e64 s0, 6, v1
	v_cndmask_b32_e64 v4, 0, 1, s0
	v_cmp_gt_u32_e64 s0, 4, v1
	s_delay_alu instid0(VALU_DEP_2) | instskip(NEXT) | instid1(VALU_DEP_2)
	v_lshlrev_b32_e32 v8, 1, v4
	v_cndmask_b32_e64 v5, 0, 1, s0
	v_cmp_ne_u32_e64 s0, 7, v1
	v_lshrrev_b32_e32 v4, 5, v0
	s_delay_alu instid0(VALU_DEP_3) | instskip(NEXT) | instid1(VALU_DEP_3)
	v_lshlrev_b32_e32 v9, 2, v5
	v_add_co_ci_u32_e64 v6, s0, 0, v7, s0
	v_cmp_gt_u32_e64 s0, 32, v0
	s_delay_alu instid0(VALU_DEP_2)
	v_lshlrev_b32_e32 v5, 2, v6
	v_add_lshl_u32 v6, v8, v7, 2
	v_add_lshl_u32 v7, v9, v7, 2
	s_branch .LBB63_2
.LBB63_1:                               ;   in Loop: Header=BB63_2 Depth=1
	s_or_b32 exec_lo, exec_lo, s4
	s_add_i32 s1, s1, -1
	s_delay_alu instid0(SALU_CYCLE_1)
	s_cmp_eq_u32 s1, 0
	s_cbranch_scc1 .LBB63_6
.LBB63_2:                               ; =>This Inner Loop Header: Depth=1
	s_waitcnt vmcnt(0)
	v_and_b32_e32 v8, 0xff, v3
	s_delay_alu instid0(VALU_DEP_1) | instskip(NEXT) | instid1(VALU_DEP_1)
	v_mov_b32_dpp v8, v8 quad_perm:[1,0,3,2] row_mask:0xf bank_mask:0xf
	v_add_nc_u16 v3, v3, v8
	s_delay_alu instid0(VALU_DEP_1) | instskip(NEXT) | instid1(VALU_DEP_1)
	v_and_b32_e32 v8, 0xff, v3
	v_mov_b32_dpp v8, v8 quad_perm:[2,3,0,1] row_mask:0xf bank_mask:0xf
	s_delay_alu instid0(VALU_DEP_1) | instskip(NEXT) | instid1(VALU_DEP_1)
	v_add_nc_u16 v3, v3, v8
	v_and_b32_e32 v8, 0xff, v3
	s_delay_alu instid0(VALU_DEP_1) | instskip(NEXT) | instid1(VALU_DEP_1)
	v_mov_b32_dpp v8, v8 row_ror:4 row_mask:0xf bank_mask:0xf
	v_add_nc_u16 v3, v3, v8
	s_delay_alu instid0(VALU_DEP_1) | instskip(NEXT) | instid1(VALU_DEP_1)
	v_and_b32_e32 v8, 0xff, v3
	v_mov_b32_dpp v8, v8 row_ror:8 row_mask:0xf bank_mask:0xf
	s_delay_alu instid0(VALU_DEP_1) | instskip(NEXT) | instid1(VALU_DEP_1)
	v_add_nc_u16 v3, v3, v8
	v_and_b32_e32 v8, 0xff, v3
	ds_swizzle_b32 v8, v8 offset:swizzle(BROADCAST,32,15)
	s_waitcnt lgkmcnt(0)
	v_add_nc_u16 v3, v3, v8
	s_delay_alu instid0(VALU_DEP_1)
	v_and_b32_e32 v3, 0xff, v3
	ds_bpermute_b32 v3, v2, v3
	s_and_saveexec_b32 s4, vcc_lo
	s_cbranch_execz .LBB63_4
; %bb.3:                                ;   in Loop: Header=BB63_2 Depth=1
	s_waitcnt lgkmcnt(0)
	ds_store_b8 v4, v3
.LBB63_4:                               ;   in Loop: Header=BB63_2 Depth=1
	s_or_b32 exec_lo, exec_lo, s4
	s_waitcnt lgkmcnt(0)
	s_barrier
	buffer_gl0_inv
	s_and_saveexec_b32 s4, s0
	s_cbranch_execz .LBB63_1
; %bb.5:                                ;   in Loop: Header=BB63_2 Depth=1
	ds_load_u8 v3, v1
	s_waitcnt lgkmcnt(0)
	v_and_b32_e32 v8, 0xff, v3
	ds_bpermute_b32 v8, v5, v8
	s_waitcnt lgkmcnt(0)
	v_add_nc_u16 v3, v3, v8
	s_delay_alu instid0(VALU_DEP_1) | instskip(SKIP_3) | instid1(VALU_DEP_1)
	v_and_b32_e32 v8, 0xff, v3
	ds_bpermute_b32 v8, v6, v8
	s_waitcnt lgkmcnt(0)
	v_add_nc_u16 v3, v3, v8
	v_and_b32_e32 v8, 0xff, v3
	ds_bpermute_b32 v8, v7, v8
	s_waitcnt lgkmcnt(0)
	v_add_nc_u16 v3, v3, v8
	s_branch .LBB63_1
.LBB63_6:
	s_mov_b32 s0, exec_lo
	v_cmpx_eq_u32_e32 0, v0
	s_cbranch_execz .LBB63_8
; %bb.7:
	v_mov_b32_e32 v0, s15
	global_store_b8 v0, v3, s[2:3]
.LBB63_8:
	s_nop 0
	s_sendmsg sendmsg(MSG_DEALLOC_VGPRS)
	s_endpgm
	.section	.rodata,"a",@progbits
	.p2align	6, 0x0
	.amdhsa_kernel _Z6kernelI6reduceILN6hipcub20BlockReduceAlgorithmE0EEhLj256ELj1ELj100EEvPKT0_PS4_
		.amdhsa_group_segment_fixed_size 8
		.amdhsa_private_segment_fixed_size 0
		.amdhsa_kernarg_size 272
		.amdhsa_user_sgpr_count 15
		.amdhsa_user_sgpr_dispatch_ptr 0
		.amdhsa_user_sgpr_queue_ptr 0
		.amdhsa_user_sgpr_kernarg_segment_ptr 1
		.amdhsa_user_sgpr_dispatch_id 0
		.amdhsa_user_sgpr_private_segment_size 0
		.amdhsa_wavefront_size32 1
		.amdhsa_uses_dynamic_stack 0
		.amdhsa_enable_private_segment 0
		.amdhsa_system_sgpr_workgroup_id_x 1
		.amdhsa_system_sgpr_workgroup_id_y 0
		.amdhsa_system_sgpr_workgroup_id_z 0
		.amdhsa_system_sgpr_workgroup_info 0
		.amdhsa_system_vgpr_workitem_id 0
		.amdhsa_next_free_vgpr 10
		.amdhsa_next_free_sgpr 16
		.amdhsa_reserve_vcc 1
		.amdhsa_float_round_mode_32 0
		.amdhsa_float_round_mode_16_64 0
		.amdhsa_float_denorm_mode_32 3
		.amdhsa_float_denorm_mode_16_64 3
		.amdhsa_dx10_clamp 1
		.amdhsa_ieee_mode 1
		.amdhsa_fp16_overflow 0
		.amdhsa_workgroup_processor_mode 1
		.amdhsa_memory_ordered 1
		.amdhsa_forward_progress 0
		.amdhsa_shared_vgpr_count 0
		.amdhsa_exception_fp_ieee_invalid_op 0
		.amdhsa_exception_fp_denorm_src 0
		.amdhsa_exception_fp_ieee_div_zero 0
		.amdhsa_exception_fp_ieee_overflow 0
		.amdhsa_exception_fp_ieee_underflow 0
		.amdhsa_exception_fp_ieee_inexact 0
		.amdhsa_exception_int_div_zero 0
	.end_amdhsa_kernel
	.section	.text._Z6kernelI6reduceILN6hipcub20BlockReduceAlgorithmE0EEhLj256ELj1ELj100EEvPKT0_PS4_,"axG",@progbits,_Z6kernelI6reduceILN6hipcub20BlockReduceAlgorithmE0EEhLj256ELj1ELj100EEvPKT0_PS4_,comdat
.Lfunc_end63:
	.size	_Z6kernelI6reduceILN6hipcub20BlockReduceAlgorithmE0EEhLj256ELj1ELj100EEvPKT0_PS4_, .Lfunc_end63-_Z6kernelI6reduceILN6hipcub20BlockReduceAlgorithmE0EEhLj256ELj1ELj100EEvPKT0_PS4_
                                        ; -- End function
	.section	.AMDGPU.csdata,"",@progbits
; Kernel info:
; codeLenInByte = 568
; NumSgprs: 18
; NumVgprs: 10
; ScratchSize: 0
; MemoryBound: 0
; FloatMode: 240
; IeeeMode: 1
; LDSByteSize: 8 bytes/workgroup (compile time only)
; SGPRBlocks: 2
; VGPRBlocks: 1
; NumSGPRsForWavesPerEU: 18
; NumVGPRsForWavesPerEU: 10
; Occupancy: 16
; WaveLimiterHint : 0
; COMPUTE_PGM_RSRC2:SCRATCH_EN: 0
; COMPUTE_PGM_RSRC2:USER_SGPR: 15
; COMPUTE_PGM_RSRC2:TRAP_HANDLER: 0
; COMPUTE_PGM_RSRC2:TGID_X_EN: 1
; COMPUTE_PGM_RSRC2:TGID_Y_EN: 0
; COMPUTE_PGM_RSRC2:TGID_Z_EN: 0
; COMPUTE_PGM_RSRC2:TIDIG_COMP_CNT: 0
	.section	.text._Z6kernelI6reduceILN6hipcub20BlockReduceAlgorithmE0EEhLj256ELj2ELj100EEvPKT0_PS4_,"axG",@progbits,_Z6kernelI6reduceILN6hipcub20BlockReduceAlgorithmE0EEhLj256ELj2ELj100EEvPKT0_PS4_,comdat
	.protected	_Z6kernelI6reduceILN6hipcub20BlockReduceAlgorithmE0EEhLj256ELj2ELj100EEvPKT0_PS4_ ; -- Begin function _Z6kernelI6reduceILN6hipcub20BlockReduceAlgorithmE0EEhLj256ELj2ELj100EEvPKT0_PS4_
	.globl	_Z6kernelI6reduceILN6hipcub20BlockReduceAlgorithmE0EEhLj256ELj2ELj100EEvPKT0_PS4_
	.p2align	8
	.type	_Z6kernelI6reduceILN6hipcub20BlockReduceAlgorithmE0EEhLj256ELj2ELj100EEvPKT0_PS4_,@function
_Z6kernelI6reduceILN6hipcub20BlockReduceAlgorithmE0EEhLj256ELj2ELj100EEvPKT0_PS4_: ; @_Z6kernelI6reduceILN6hipcub20BlockReduceAlgorithmE0EEhLj256ELj2ELj100EEvPKT0_PS4_
; %bb.0:
	s_clause 0x1
	s_load_b32 s4, s[0:1], 0x1c
	s_load_b128 s[0:3], s[0:1], 0x0
	v_mbcnt_lo_u32_b32 v7, -1, 0
	s_delay_alu instid0(VALU_DEP_1) | instskip(SKIP_3) | instid1(SALU_CYCLE_1)
	v_dual_mov_b32 v3, 0x7c :: v_dual_and_b32 v2, 7, v7
	v_cmp_eq_u32_e32 vcc_lo, 0, v7
	s_waitcnt lgkmcnt(0)
	s_and_b32 s4, s4, 0xffff
	s_mul_i32 s4, s15, s4
	s_delay_alu instid0(SALU_CYCLE_1) | instskip(SKIP_3) | instid1(VALU_DEP_1)
	v_add_lshl_u32 v1, s4, v0, 1
	global_load_u16 v1, v1, s[0:1]
	v_cmp_gt_u32_e64 s0, 6, v2
	s_movk_i32 s1, 0x64
	v_cndmask_b32_e64 v4, 0, 1, s0
	v_cmp_gt_u32_e64 s0, 4, v2
	s_delay_alu instid0(VALU_DEP_2) | instskip(NEXT) | instid1(VALU_DEP_2)
	v_lshlrev_b32_e32 v8, 1, v4
	v_cndmask_b32_e64 v5, 0, 1, s0
	v_cmp_ne_u32_e64 s0, 7, v2
	v_lshrrev_b32_e32 v4, 5, v0
	s_delay_alu instid0(VALU_DEP_3) | instskip(NEXT) | instid1(VALU_DEP_3)
	v_lshlrev_b32_e32 v9, 2, v5
	v_add_co_ci_u32_e64 v6, s0, 0, v7, s0
	v_cmp_gt_u32_e64 s0, 32, v0
	s_delay_alu instid0(VALU_DEP_2)
	v_lshlrev_b32_e32 v5, 2, v6
	v_add_lshl_u32 v6, v8, v7, 2
	v_add_lshl_u32 v7, v9, v7, 2
	s_branch .LBB64_2
.LBB64_1:                               ;   in Loop: Header=BB64_2 Depth=1
	s_or_b32 exec_lo, exec_lo, s4
	v_and_b32_e32 v1, 0xffffff00, v1
	s_delay_alu instid0(VALU_DEP_2) | instskip(SKIP_1) | instid1(SALU_CYCLE_1)
	v_and_b32_e32 v9, 0xff, v8
	s_add_i32 s1, s1, -1
	s_cmp_eq_u32 s1, 0
	s_delay_alu instid0(VALU_DEP_1) | instskip(NEXT) | instid1(VALU_DEP_1)
	v_or_b32_e32 v1, v9, v1
	v_and_b32_e32 v1, 0xffff, v1
	s_cbranch_scc1 .LBB64_6
.LBB64_2:                               ; =>This Inner Loop Header: Depth=1
	s_waitcnt vmcnt(0)
	s_delay_alu instid0(VALU_DEP_1) | instskip(NEXT) | instid1(VALU_DEP_1)
	v_lshrrev_b16 v8, 8, v1
	v_add_nc_u16 v8, v8, v1
	s_delay_alu instid0(VALU_DEP_1) | instskip(NEXT) | instid1(VALU_DEP_1)
	v_and_b32_e32 v9, 0xff, v8
	v_mov_b32_dpp v9, v9 quad_perm:[1,0,3,2] row_mask:0xf bank_mask:0xf
	s_delay_alu instid0(VALU_DEP_1) | instskip(NEXT) | instid1(VALU_DEP_1)
	v_add_nc_u16 v8, v8, v9
	v_and_b32_e32 v9, 0xff, v8
	s_delay_alu instid0(VALU_DEP_1) | instskip(NEXT) | instid1(VALU_DEP_1)
	v_mov_b32_dpp v9, v9 quad_perm:[2,3,0,1] row_mask:0xf bank_mask:0xf
	v_add_nc_u16 v8, v8, v9
	s_delay_alu instid0(VALU_DEP_1) | instskip(NEXT) | instid1(VALU_DEP_1)
	v_and_b32_e32 v9, 0xff, v8
	v_mov_b32_dpp v9, v9 row_ror:4 row_mask:0xf bank_mask:0xf
	s_delay_alu instid0(VALU_DEP_1) | instskip(NEXT) | instid1(VALU_DEP_1)
	v_add_nc_u16 v8, v8, v9
	v_and_b32_e32 v9, 0xff, v8
	s_delay_alu instid0(VALU_DEP_1) | instskip(NEXT) | instid1(VALU_DEP_1)
	v_mov_b32_dpp v9, v9 row_ror:8 row_mask:0xf bank_mask:0xf
	v_add_nc_u16 v8, v8, v9
	s_delay_alu instid0(VALU_DEP_1) | instskip(SKIP_3) | instid1(VALU_DEP_1)
	v_and_b32_e32 v9, 0xff, v8
	ds_swizzle_b32 v9, v9 offset:swizzle(BROADCAST,32,15)
	s_waitcnt lgkmcnt(0)
	v_add_nc_u16 v8, v8, v9
	v_and_b32_e32 v8, 0xff, v8
	ds_bpermute_b32 v8, v3, v8
	s_and_saveexec_b32 s4, vcc_lo
	s_cbranch_execz .LBB64_4
; %bb.3:                                ;   in Loop: Header=BB64_2 Depth=1
	s_waitcnt lgkmcnt(0)
	ds_store_b8 v4, v8
.LBB64_4:                               ;   in Loop: Header=BB64_2 Depth=1
	s_or_b32 exec_lo, exec_lo, s4
	s_waitcnt lgkmcnt(0)
	s_barrier
	buffer_gl0_inv
	s_and_saveexec_b32 s4, s0
	s_cbranch_execz .LBB64_1
; %bb.5:                                ;   in Loop: Header=BB64_2 Depth=1
	ds_load_u8 v8, v2
	s_waitcnt lgkmcnt(0)
	v_and_b32_e32 v9, 0xff, v8
	ds_bpermute_b32 v9, v5, v9
	s_waitcnt lgkmcnt(0)
	v_add_nc_u16 v8, v8, v9
	s_delay_alu instid0(VALU_DEP_1) | instskip(SKIP_3) | instid1(VALU_DEP_1)
	v_and_b32_e32 v9, 0xff, v8
	ds_bpermute_b32 v9, v6, v9
	s_waitcnt lgkmcnt(0)
	v_add_nc_u16 v8, v8, v9
	v_and_b32_e32 v9, 0xff, v8
	ds_bpermute_b32 v9, v7, v9
	s_waitcnt lgkmcnt(0)
	v_add_nc_u16 v8, v8, v9
	s_branch .LBB64_1
.LBB64_6:
	s_mov_b32 s0, exec_lo
	v_cmpx_eq_u32_e32 0, v0
	s_cbranch_execz .LBB64_8
; %bb.7:
	v_mov_b32_e32 v0, s15
	global_store_b8 v0, v8, s[2:3]
.LBB64_8:
	s_nop 0
	s_sendmsg sendmsg(MSG_DEALLOC_VGPRS)
	s_endpgm
	.section	.rodata,"a",@progbits
	.p2align	6, 0x0
	.amdhsa_kernel _Z6kernelI6reduceILN6hipcub20BlockReduceAlgorithmE0EEhLj256ELj2ELj100EEvPKT0_PS4_
		.amdhsa_group_segment_fixed_size 8
		.amdhsa_private_segment_fixed_size 0
		.amdhsa_kernarg_size 272
		.amdhsa_user_sgpr_count 15
		.amdhsa_user_sgpr_dispatch_ptr 0
		.amdhsa_user_sgpr_queue_ptr 0
		.amdhsa_user_sgpr_kernarg_segment_ptr 1
		.amdhsa_user_sgpr_dispatch_id 0
		.amdhsa_user_sgpr_private_segment_size 0
		.amdhsa_wavefront_size32 1
		.amdhsa_uses_dynamic_stack 0
		.amdhsa_enable_private_segment 0
		.amdhsa_system_sgpr_workgroup_id_x 1
		.amdhsa_system_sgpr_workgroup_id_y 0
		.amdhsa_system_sgpr_workgroup_id_z 0
		.amdhsa_system_sgpr_workgroup_info 0
		.amdhsa_system_vgpr_workitem_id 0
		.amdhsa_next_free_vgpr 10
		.amdhsa_next_free_sgpr 16
		.amdhsa_reserve_vcc 1
		.amdhsa_float_round_mode_32 0
		.amdhsa_float_round_mode_16_64 0
		.amdhsa_float_denorm_mode_32 3
		.amdhsa_float_denorm_mode_16_64 3
		.amdhsa_dx10_clamp 1
		.amdhsa_ieee_mode 1
		.amdhsa_fp16_overflow 0
		.amdhsa_workgroup_processor_mode 1
		.amdhsa_memory_ordered 1
		.amdhsa_forward_progress 0
		.amdhsa_shared_vgpr_count 0
		.amdhsa_exception_fp_ieee_invalid_op 0
		.amdhsa_exception_fp_denorm_src 0
		.amdhsa_exception_fp_ieee_div_zero 0
		.amdhsa_exception_fp_ieee_overflow 0
		.amdhsa_exception_fp_ieee_underflow 0
		.amdhsa_exception_fp_ieee_inexact 0
		.amdhsa_exception_int_div_zero 0
	.end_amdhsa_kernel
	.section	.text._Z6kernelI6reduceILN6hipcub20BlockReduceAlgorithmE0EEhLj256ELj2ELj100EEvPKT0_PS4_,"axG",@progbits,_Z6kernelI6reduceILN6hipcub20BlockReduceAlgorithmE0EEhLj256ELj2ELj100EEvPKT0_PS4_,comdat
.Lfunc_end64:
	.size	_Z6kernelI6reduceILN6hipcub20BlockReduceAlgorithmE0EEhLj256ELj2ELj100EEvPKT0_PS4_, .Lfunc_end64-_Z6kernelI6reduceILN6hipcub20BlockReduceAlgorithmE0EEhLj256ELj2ELj100EEvPKT0_PS4_
                                        ; -- End function
	.section	.AMDGPU.csdata,"",@progbits
; Kernel info:
; codeLenInByte = 624
; NumSgprs: 18
; NumVgprs: 10
; ScratchSize: 0
; MemoryBound: 0
; FloatMode: 240
; IeeeMode: 1
; LDSByteSize: 8 bytes/workgroup (compile time only)
; SGPRBlocks: 2
; VGPRBlocks: 1
; NumSGPRsForWavesPerEU: 18
; NumVGPRsForWavesPerEU: 10
; Occupancy: 16
; WaveLimiterHint : 0
; COMPUTE_PGM_RSRC2:SCRATCH_EN: 0
; COMPUTE_PGM_RSRC2:USER_SGPR: 15
; COMPUTE_PGM_RSRC2:TRAP_HANDLER: 0
; COMPUTE_PGM_RSRC2:TGID_X_EN: 1
; COMPUTE_PGM_RSRC2:TGID_Y_EN: 0
; COMPUTE_PGM_RSRC2:TGID_Z_EN: 0
; COMPUTE_PGM_RSRC2:TIDIG_COMP_CNT: 0
	.section	.text._Z6kernelI6reduceILN6hipcub20BlockReduceAlgorithmE0EEhLj256ELj3ELj100EEvPKT0_PS4_,"axG",@progbits,_Z6kernelI6reduceILN6hipcub20BlockReduceAlgorithmE0EEhLj256ELj3ELj100EEvPKT0_PS4_,comdat
	.protected	_Z6kernelI6reduceILN6hipcub20BlockReduceAlgorithmE0EEhLj256ELj3ELj100EEvPKT0_PS4_ ; -- Begin function _Z6kernelI6reduceILN6hipcub20BlockReduceAlgorithmE0EEhLj256ELj3ELj100EEvPKT0_PS4_
	.globl	_Z6kernelI6reduceILN6hipcub20BlockReduceAlgorithmE0EEhLj256ELj3ELj100EEvPKT0_PS4_
	.p2align	8
	.type	_Z6kernelI6reduceILN6hipcub20BlockReduceAlgorithmE0EEhLj256ELj3ELj100EEvPKT0_PS4_,@function
_Z6kernelI6reduceILN6hipcub20BlockReduceAlgorithmE0EEhLj256ELj3ELj100EEvPKT0_PS4_: ; @_Z6kernelI6reduceILN6hipcub20BlockReduceAlgorithmE0EEhLj256ELj3ELj100EEvPKT0_PS4_
; %bb.0:
	s_clause 0x1
	s_load_b32 s4, s[0:1], 0x1c
	s_load_b128 s[0:3], s[0:1], 0x0
	v_mbcnt_lo_u32_b32 v7, -1, 0
	s_delay_alu instid0(VALU_DEP_1) | instskip(SKIP_2) | instid1(SALU_CYCLE_1)
	v_cmp_eq_u32_e32 vcc_lo, 0, v7
	s_waitcnt lgkmcnt(0)
	s_and_b32 s4, s4, 0xffff
	v_mad_u64_u32 v[1:2], null, s15, s4, v[0:1]
	s_delay_alu instid0(VALU_DEP_1) | instskip(NEXT) | instid1(VALU_DEP_1)
	v_lshl_add_u32 v1, v1, 1, v1
	v_add_nc_u32_e32 v2, 1, v1
	s_clause 0x1
	global_load_u8 v3, v2, s[0:1]
	global_load_u8 v4, v1, s[0:1]
	v_dual_mov_b32 v2, 0x7c :: v_dual_add_nc_u32 v1, 2, v1
	global_load_u8 v6, v1, s[0:1]
	v_and_b32_e32 v1, 7, v7
	v_cmp_gt_u32_e64 s0, 32, v0
	s_delay_alu instid0(VALU_DEP_2) | instskip(NEXT) | instid1(VALU_DEP_1)
	v_cmp_gt_u32_e64 s1, 6, v1
	v_cndmask_b32_e64 v5, 0, 1, s1
	v_cmp_gt_u32_e64 s1, 4, v1
	s_delay_alu instid0(VALU_DEP_2) | instskip(NEXT) | instid1(VALU_DEP_2)
	v_lshlrev_b32_e32 v5, 1, v5
	v_cndmask_b32_e64 v8, 0, 1, s1
	v_cmp_ne_u32_e64 s1, 7, v1
	s_delay_alu instid0(VALU_DEP_3) | instskip(NEXT) | instid1(VALU_DEP_3)
	v_add_lshl_u32 v5, v5, v7, 2
	v_lshlrev_b32_e32 v8, 2, v8
	s_waitcnt vmcnt(2)
	v_lshlrev_b16 v3, 8, v3
	s_waitcnt vmcnt(1)
	s_delay_alu instid0(VALU_DEP_1) | instskip(SKIP_3) | instid1(VALU_DEP_3)
	v_or_b32_e32 v3, v4, v3
	v_add_co_ci_u32_e64 v4, s1, 0, v7, s1
	v_add_lshl_u32 v7, v8, v7, 2
	s_movk_i32 s1, 0x64
	v_and_b32_e32 v9, 0xffff, v3
	v_lshrrev_b32_e32 v3, 5, v0
	v_lshlrev_b32_e32 v4, 2, v4
	s_waitcnt vmcnt(0)
	s_delay_alu instid0(VALU_DEP_3)
	v_lshl_or_b32 v6, v6, 16, v9
	s_branch .LBB65_2
.LBB65_1:                               ;   in Loop: Header=BB65_2 Depth=1
	s_or_b32 exec_lo, exec_lo, s4
	s_delay_alu instid0(VALU_DEP_1) | instskip(SKIP_2) | instid1(SALU_CYCLE_1)
	v_and_b32_e32 v10, 0xff, v9
	v_lshlrev_b16 v8, 8, v8
	s_add_i32 s1, s1, -1
	s_cmp_eq_u32 s1, 0
	s_delay_alu instid0(VALU_DEP_1) | instskip(NEXT) | instid1(VALU_DEP_1)
	v_or_b32_e32 v8, v10, v8
	v_and_b32_e32 v8, 0xffff, v8
	s_delay_alu instid0(VALU_DEP_1)
	v_and_or_b32 v6, 0xff0000, v6, v8
	s_cbranch_scc1 .LBB65_6
.LBB65_2:                               ; =>This Inner Loop Header: Depth=1
	s_delay_alu instid0(VALU_DEP_1) | instskip(SKIP_1) | instid1(VALU_DEP_2)
	v_lshrrev_b32_e32 v8, 8, v6
	v_lshrrev_b32_e32 v9, 16, v6
	v_add_nc_u16 v10, v8, v6
	s_delay_alu instid0(VALU_DEP_1) | instskip(NEXT) | instid1(VALU_DEP_1)
	v_add_nc_u16 v9, v10, v9
	v_and_b32_e32 v10, 0xff, v9
	s_delay_alu instid0(VALU_DEP_1) | instskip(NEXT) | instid1(VALU_DEP_1)
	v_mov_b32_dpp v10, v10 quad_perm:[1,0,3,2] row_mask:0xf bank_mask:0xf
	v_add_nc_u16 v9, v9, v10
	s_delay_alu instid0(VALU_DEP_1) | instskip(NEXT) | instid1(VALU_DEP_1)
	v_and_b32_e32 v10, 0xff, v9
	v_mov_b32_dpp v10, v10 quad_perm:[2,3,0,1] row_mask:0xf bank_mask:0xf
	s_delay_alu instid0(VALU_DEP_1) | instskip(NEXT) | instid1(VALU_DEP_1)
	v_add_nc_u16 v9, v9, v10
	v_and_b32_e32 v10, 0xff, v9
	s_delay_alu instid0(VALU_DEP_1) | instskip(NEXT) | instid1(VALU_DEP_1)
	v_mov_b32_dpp v10, v10 row_ror:4 row_mask:0xf bank_mask:0xf
	v_add_nc_u16 v9, v9, v10
	s_delay_alu instid0(VALU_DEP_1) | instskip(NEXT) | instid1(VALU_DEP_1)
	v_and_b32_e32 v10, 0xff, v9
	v_mov_b32_dpp v10, v10 row_ror:8 row_mask:0xf bank_mask:0xf
	s_delay_alu instid0(VALU_DEP_1) | instskip(NEXT) | instid1(VALU_DEP_1)
	v_add_nc_u16 v9, v9, v10
	v_and_b32_e32 v10, 0xff, v9
	ds_swizzle_b32 v10, v10 offset:swizzle(BROADCAST,32,15)
	s_waitcnt lgkmcnt(0)
	v_add_nc_u16 v9, v9, v10
	s_delay_alu instid0(VALU_DEP_1)
	v_and_b32_e32 v9, 0xff, v9
	ds_bpermute_b32 v9, v2, v9
	s_and_saveexec_b32 s4, vcc_lo
	s_cbranch_execz .LBB65_4
; %bb.3:                                ;   in Loop: Header=BB65_2 Depth=1
	s_waitcnt lgkmcnt(0)
	ds_store_b8 v3, v9
.LBB65_4:                               ;   in Loop: Header=BB65_2 Depth=1
	s_or_b32 exec_lo, exec_lo, s4
	s_waitcnt lgkmcnt(0)
	s_barrier
	buffer_gl0_inv
	s_and_saveexec_b32 s4, s0
	s_cbranch_execz .LBB65_1
; %bb.5:                                ;   in Loop: Header=BB65_2 Depth=1
	ds_load_u8 v9, v1
	s_waitcnt lgkmcnt(0)
	v_and_b32_e32 v10, 0xff, v9
	ds_bpermute_b32 v10, v4, v10
	s_waitcnt lgkmcnt(0)
	v_add_nc_u16 v9, v9, v10
	s_delay_alu instid0(VALU_DEP_1) | instskip(SKIP_3) | instid1(VALU_DEP_1)
	v_and_b32_e32 v10, 0xff, v9
	ds_bpermute_b32 v10, v5, v10
	s_waitcnt lgkmcnt(0)
	v_add_nc_u16 v9, v9, v10
	v_and_b32_e32 v10, 0xff, v9
	ds_bpermute_b32 v10, v7, v10
	s_waitcnt lgkmcnt(0)
	v_add_nc_u16 v9, v9, v10
	s_branch .LBB65_1
.LBB65_6:
	s_mov_b32 s0, exec_lo
	v_cmpx_eq_u32_e32 0, v0
	s_cbranch_execz .LBB65_8
; %bb.7:
	v_mov_b32_e32 v0, s15
	global_store_b8 v0, v9, s[2:3]
.LBB65_8:
	s_nop 0
	s_sendmsg sendmsg(MSG_DEALLOC_VGPRS)
	s_endpgm
	.section	.rodata,"a",@progbits
	.p2align	6, 0x0
	.amdhsa_kernel _Z6kernelI6reduceILN6hipcub20BlockReduceAlgorithmE0EEhLj256ELj3ELj100EEvPKT0_PS4_
		.amdhsa_group_segment_fixed_size 8
		.amdhsa_private_segment_fixed_size 0
		.amdhsa_kernarg_size 272
		.amdhsa_user_sgpr_count 15
		.amdhsa_user_sgpr_dispatch_ptr 0
		.amdhsa_user_sgpr_queue_ptr 0
		.amdhsa_user_sgpr_kernarg_segment_ptr 1
		.amdhsa_user_sgpr_dispatch_id 0
		.amdhsa_user_sgpr_private_segment_size 0
		.amdhsa_wavefront_size32 1
		.amdhsa_uses_dynamic_stack 0
		.amdhsa_enable_private_segment 0
		.amdhsa_system_sgpr_workgroup_id_x 1
		.amdhsa_system_sgpr_workgroup_id_y 0
		.amdhsa_system_sgpr_workgroup_id_z 0
		.amdhsa_system_sgpr_workgroup_info 0
		.amdhsa_system_vgpr_workitem_id 0
		.amdhsa_next_free_vgpr 11
		.amdhsa_next_free_sgpr 16
		.amdhsa_reserve_vcc 1
		.amdhsa_float_round_mode_32 0
		.amdhsa_float_round_mode_16_64 0
		.amdhsa_float_denorm_mode_32 3
		.amdhsa_float_denorm_mode_16_64 3
		.amdhsa_dx10_clamp 1
		.amdhsa_ieee_mode 1
		.amdhsa_fp16_overflow 0
		.amdhsa_workgroup_processor_mode 1
		.amdhsa_memory_ordered 1
		.amdhsa_forward_progress 0
		.amdhsa_shared_vgpr_count 0
		.amdhsa_exception_fp_ieee_invalid_op 0
		.amdhsa_exception_fp_denorm_src 0
		.amdhsa_exception_fp_ieee_div_zero 0
		.amdhsa_exception_fp_ieee_overflow 0
		.amdhsa_exception_fp_ieee_underflow 0
		.amdhsa_exception_fp_ieee_inexact 0
		.amdhsa_exception_int_div_zero 0
	.end_amdhsa_kernel
	.section	.text._Z6kernelI6reduceILN6hipcub20BlockReduceAlgorithmE0EEhLj256ELj3ELj100EEvPKT0_PS4_,"axG",@progbits,_Z6kernelI6reduceILN6hipcub20BlockReduceAlgorithmE0EEhLj256ELj3ELj100EEvPKT0_PS4_,comdat
.Lfunc_end65:
	.size	_Z6kernelI6reduceILN6hipcub20BlockReduceAlgorithmE0EEhLj256ELj3ELj100EEvPKT0_PS4_, .Lfunc_end65-_Z6kernelI6reduceILN6hipcub20BlockReduceAlgorithmE0EEhLj256ELj3ELj100EEvPKT0_PS4_
                                        ; -- End function
	.section	.AMDGPU.csdata,"",@progbits
; Kernel info:
; codeLenInByte = 728
; NumSgprs: 18
; NumVgprs: 11
; ScratchSize: 0
; MemoryBound: 0
; FloatMode: 240
; IeeeMode: 1
; LDSByteSize: 8 bytes/workgroup (compile time only)
; SGPRBlocks: 2
; VGPRBlocks: 1
; NumSGPRsForWavesPerEU: 18
; NumVGPRsForWavesPerEU: 11
; Occupancy: 16
; WaveLimiterHint : 0
; COMPUTE_PGM_RSRC2:SCRATCH_EN: 0
; COMPUTE_PGM_RSRC2:USER_SGPR: 15
; COMPUTE_PGM_RSRC2:TRAP_HANDLER: 0
; COMPUTE_PGM_RSRC2:TGID_X_EN: 1
; COMPUTE_PGM_RSRC2:TGID_Y_EN: 0
; COMPUTE_PGM_RSRC2:TGID_Z_EN: 0
; COMPUTE_PGM_RSRC2:TIDIG_COMP_CNT: 0
	.section	.text._Z6kernelI6reduceILN6hipcub20BlockReduceAlgorithmE0EEhLj256ELj4ELj100EEvPKT0_PS4_,"axG",@progbits,_Z6kernelI6reduceILN6hipcub20BlockReduceAlgorithmE0EEhLj256ELj4ELj100EEvPKT0_PS4_,comdat
	.protected	_Z6kernelI6reduceILN6hipcub20BlockReduceAlgorithmE0EEhLj256ELj4ELj100EEvPKT0_PS4_ ; -- Begin function _Z6kernelI6reduceILN6hipcub20BlockReduceAlgorithmE0EEhLj256ELj4ELj100EEvPKT0_PS4_
	.globl	_Z6kernelI6reduceILN6hipcub20BlockReduceAlgorithmE0EEhLj256ELj4ELj100EEvPKT0_PS4_
	.p2align	8
	.type	_Z6kernelI6reduceILN6hipcub20BlockReduceAlgorithmE0EEhLj256ELj4ELj100EEvPKT0_PS4_,@function
_Z6kernelI6reduceILN6hipcub20BlockReduceAlgorithmE0EEhLj256ELj4ELj100EEvPKT0_PS4_: ; @_Z6kernelI6reduceILN6hipcub20BlockReduceAlgorithmE0EEhLj256ELj4ELj100EEvPKT0_PS4_
; %bb.0:
	s_clause 0x1
	s_load_b32 s4, s[0:1], 0x1c
	s_load_b128 s[0:3], s[0:1], 0x0
	v_mbcnt_lo_u32_b32 v7, -1, 0
	s_delay_alu instid0(VALU_DEP_1) | instskip(SKIP_3) | instid1(SALU_CYCLE_1)
	v_dual_mov_b32 v3, 0x7c :: v_dual_and_b32 v2, 7, v7
	v_cmp_eq_u32_e32 vcc_lo, 0, v7
	s_waitcnt lgkmcnt(0)
	s_and_b32 s4, s4, 0xffff
	s_mul_i32 s4, s15, s4
	s_delay_alu instid0(SALU_CYCLE_1) | instskip(SKIP_3) | instid1(VALU_DEP_1)
	v_add_lshl_u32 v1, s4, v0, 2
	global_load_b32 v1, v1, s[0:1]
	v_cmp_gt_u32_e64 s0, 6, v2
	s_movk_i32 s1, 0x64
	v_cndmask_b32_e64 v4, 0, 1, s0
	v_cmp_gt_u32_e64 s0, 4, v2
	s_delay_alu instid0(VALU_DEP_2) | instskip(NEXT) | instid1(VALU_DEP_2)
	v_lshlrev_b32_e32 v8, 1, v4
	v_cndmask_b32_e64 v5, 0, 1, s0
	v_cmp_ne_u32_e64 s0, 7, v2
	v_lshrrev_b32_e32 v4, 5, v0
	s_delay_alu instid0(VALU_DEP_3) | instskip(NEXT) | instid1(VALU_DEP_3)
	v_lshlrev_b32_e32 v9, 2, v5
	v_add_co_ci_u32_e64 v6, s0, 0, v7, s0
	v_cmp_gt_u32_e64 s0, 32, v0
	s_delay_alu instid0(VALU_DEP_2)
	v_lshlrev_b32_e32 v5, 2, v6
	v_add_lshl_u32 v6, v8, v7, 2
	v_add_lshl_u32 v7, v9, v7, 2
	s_branch .LBB66_2
.LBB66_1:                               ;   in Loop: Header=BB66_2 Depth=1
	s_or_b32 exec_lo, exec_lo, s4
	s_delay_alu instid0(VALU_DEP_1) | instskip(SKIP_1) | instid1(SALU_CYCLE_1)
	v_perm_b32 v1, v8, v1, 0x3020104
	s_add_i32 s1, s1, -1
	s_cmp_eq_u32 s1, 0
	s_cbranch_scc1 .LBB66_6
.LBB66_2:                               ; =>This Inner Loop Header: Depth=1
	s_waitcnt vmcnt(0)
	v_lshrrev_b32_e32 v8, 8, v1
	v_lshrrev_b32_e32 v9, 16, v1
	s_delay_alu instid0(VALU_DEP_2) | instskip(NEXT) | instid1(VALU_DEP_1)
	v_add_nc_u16 v8, v8, v1
	v_add_nc_u16 v8, v8, v9
	v_lshrrev_b32_e32 v9, 24, v1
	s_delay_alu instid0(VALU_DEP_1) | instskip(NEXT) | instid1(VALU_DEP_1)
	v_add_nc_u16 v8, v8, v9
	v_and_b32_e32 v9, 0xff, v8
	s_delay_alu instid0(VALU_DEP_1) | instskip(NEXT) | instid1(VALU_DEP_1)
	v_mov_b32_dpp v9, v9 quad_perm:[1,0,3,2] row_mask:0xf bank_mask:0xf
	v_add_nc_u16 v8, v8, v9
	s_delay_alu instid0(VALU_DEP_1) | instskip(NEXT) | instid1(VALU_DEP_1)
	v_and_b32_e32 v9, 0xff, v8
	v_mov_b32_dpp v9, v9 quad_perm:[2,3,0,1] row_mask:0xf bank_mask:0xf
	s_delay_alu instid0(VALU_DEP_1) | instskip(NEXT) | instid1(VALU_DEP_1)
	v_add_nc_u16 v8, v8, v9
	v_and_b32_e32 v9, 0xff, v8
	s_delay_alu instid0(VALU_DEP_1) | instskip(NEXT) | instid1(VALU_DEP_1)
	v_mov_b32_dpp v9, v9 row_ror:4 row_mask:0xf bank_mask:0xf
	v_add_nc_u16 v8, v8, v9
	s_delay_alu instid0(VALU_DEP_1) | instskip(NEXT) | instid1(VALU_DEP_1)
	v_and_b32_e32 v9, 0xff, v8
	v_mov_b32_dpp v9, v9 row_ror:8 row_mask:0xf bank_mask:0xf
	s_delay_alu instid0(VALU_DEP_1) | instskip(NEXT) | instid1(VALU_DEP_1)
	v_add_nc_u16 v8, v8, v9
	v_and_b32_e32 v9, 0xff, v8
	ds_swizzle_b32 v9, v9 offset:swizzle(BROADCAST,32,15)
	s_waitcnt lgkmcnt(0)
	v_add_nc_u16 v8, v8, v9
	s_delay_alu instid0(VALU_DEP_1)
	v_and_b32_e32 v8, 0xff, v8
	ds_bpermute_b32 v8, v3, v8
	s_and_saveexec_b32 s4, vcc_lo
	s_cbranch_execz .LBB66_4
; %bb.3:                                ;   in Loop: Header=BB66_2 Depth=1
	s_waitcnt lgkmcnt(0)
	ds_store_b8 v4, v8
.LBB66_4:                               ;   in Loop: Header=BB66_2 Depth=1
	s_or_b32 exec_lo, exec_lo, s4
	s_waitcnt lgkmcnt(0)
	s_barrier
	buffer_gl0_inv
	s_and_saveexec_b32 s4, s0
	s_cbranch_execz .LBB66_1
; %bb.5:                                ;   in Loop: Header=BB66_2 Depth=1
	ds_load_u8 v8, v2
	s_waitcnt lgkmcnt(0)
	v_and_b32_e32 v9, 0xff, v8
	ds_bpermute_b32 v9, v5, v9
	s_waitcnt lgkmcnt(0)
	v_add_nc_u16 v8, v8, v9
	s_delay_alu instid0(VALU_DEP_1) | instskip(SKIP_3) | instid1(VALU_DEP_1)
	v_and_b32_e32 v9, 0xff, v8
	ds_bpermute_b32 v9, v6, v9
	s_waitcnt lgkmcnt(0)
	v_add_nc_u16 v8, v8, v9
	v_and_b32_e32 v9, 0xff, v8
	ds_bpermute_b32 v9, v7, v9
	s_waitcnt lgkmcnt(0)
	v_add_nc_u16 v8, v8, v9
	s_branch .LBB66_1
.LBB66_6:
	s_mov_b32 s0, exec_lo
	v_cmpx_eq_u32_e32 0, v0
	s_cbranch_execz .LBB66_8
; %bb.7:
	v_mov_b32_e32 v0, s15
	global_store_b8 v0, v8, s[2:3]
.LBB66_8:
	s_nop 0
	s_sendmsg sendmsg(MSG_DEALLOC_VGPRS)
	s_endpgm
	.section	.rodata,"a",@progbits
	.p2align	6, 0x0
	.amdhsa_kernel _Z6kernelI6reduceILN6hipcub20BlockReduceAlgorithmE0EEhLj256ELj4ELj100EEvPKT0_PS4_
		.amdhsa_group_segment_fixed_size 8
		.amdhsa_private_segment_fixed_size 0
		.amdhsa_kernarg_size 272
		.amdhsa_user_sgpr_count 15
		.amdhsa_user_sgpr_dispatch_ptr 0
		.amdhsa_user_sgpr_queue_ptr 0
		.amdhsa_user_sgpr_kernarg_segment_ptr 1
		.amdhsa_user_sgpr_dispatch_id 0
		.amdhsa_user_sgpr_private_segment_size 0
		.amdhsa_wavefront_size32 1
		.amdhsa_uses_dynamic_stack 0
		.amdhsa_enable_private_segment 0
		.amdhsa_system_sgpr_workgroup_id_x 1
		.amdhsa_system_sgpr_workgroup_id_y 0
		.amdhsa_system_sgpr_workgroup_id_z 0
		.amdhsa_system_sgpr_workgroup_info 0
		.amdhsa_system_vgpr_workitem_id 0
		.amdhsa_next_free_vgpr 10
		.amdhsa_next_free_sgpr 16
		.amdhsa_reserve_vcc 1
		.amdhsa_float_round_mode_32 0
		.amdhsa_float_round_mode_16_64 0
		.amdhsa_float_denorm_mode_32 3
		.amdhsa_float_denorm_mode_16_64 3
		.amdhsa_dx10_clamp 1
		.amdhsa_ieee_mode 1
		.amdhsa_fp16_overflow 0
		.amdhsa_workgroup_processor_mode 1
		.amdhsa_memory_ordered 1
		.amdhsa_forward_progress 0
		.amdhsa_shared_vgpr_count 0
		.amdhsa_exception_fp_ieee_invalid_op 0
		.amdhsa_exception_fp_denorm_src 0
		.amdhsa_exception_fp_ieee_div_zero 0
		.amdhsa_exception_fp_ieee_overflow 0
		.amdhsa_exception_fp_ieee_underflow 0
		.amdhsa_exception_fp_ieee_inexact 0
		.amdhsa_exception_int_div_zero 0
	.end_amdhsa_kernel
	.section	.text._Z6kernelI6reduceILN6hipcub20BlockReduceAlgorithmE0EEhLj256ELj4ELj100EEvPKT0_PS4_,"axG",@progbits,_Z6kernelI6reduceILN6hipcub20BlockReduceAlgorithmE0EEhLj256ELj4ELj100EEvPKT0_PS4_,comdat
.Lfunc_end66:
	.size	_Z6kernelI6reduceILN6hipcub20BlockReduceAlgorithmE0EEhLj256ELj4ELj100EEvPKT0_PS4_, .Lfunc_end66-_Z6kernelI6reduceILN6hipcub20BlockReduceAlgorithmE0EEhLj256ELj4ELj100EEvPKT0_PS4_
                                        ; -- End function
	.section	.AMDGPU.csdata,"",@progbits
; Kernel info:
; codeLenInByte = 628
; NumSgprs: 18
; NumVgprs: 10
; ScratchSize: 0
; MemoryBound: 0
; FloatMode: 240
; IeeeMode: 1
; LDSByteSize: 8 bytes/workgroup (compile time only)
; SGPRBlocks: 2
; VGPRBlocks: 1
; NumSGPRsForWavesPerEU: 18
; NumVGPRsForWavesPerEU: 10
; Occupancy: 16
; WaveLimiterHint : 0
; COMPUTE_PGM_RSRC2:SCRATCH_EN: 0
; COMPUTE_PGM_RSRC2:USER_SGPR: 15
; COMPUTE_PGM_RSRC2:TRAP_HANDLER: 0
; COMPUTE_PGM_RSRC2:TGID_X_EN: 1
; COMPUTE_PGM_RSRC2:TGID_Y_EN: 0
; COMPUTE_PGM_RSRC2:TGID_Z_EN: 0
; COMPUTE_PGM_RSRC2:TIDIG_COMP_CNT: 0
	.section	.text._Z6kernelI6reduceILN6hipcub20BlockReduceAlgorithmE0EEhLj256ELj8ELj100EEvPKT0_PS4_,"axG",@progbits,_Z6kernelI6reduceILN6hipcub20BlockReduceAlgorithmE0EEhLj256ELj8ELj100EEvPKT0_PS4_,comdat
	.protected	_Z6kernelI6reduceILN6hipcub20BlockReduceAlgorithmE0EEhLj256ELj8ELj100EEvPKT0_PS4_ ; -- Begin function _Z6kernelI6reduceILN6hipcub20BlockReduceAlgorithmE0EEhLj256ELj8ELj100EEvPKT0_PS4_
	.globl	_Z6kernelI6reduceILN6hipcub20BlockReduceAlgorithmE0EEhLj256ELj8ELj100EEvPKT0_PS4_
	.p2align	8
	.type	_Z6kernelI6reduceILN6hipcub20BlockReduceAlgorithmE0EEhLj256ELj8ELj100EEvPKT0_PS4_,@function
_Z6kernelI6reduceILN6hipcub20BlockReduceAlgorithmE0EEhLj256ELj8ELj100EEvPKT0_PS4_: ; @_Z6kernelI6reduceILN6hipcub20BlockReduceAlgorithmE0EEhLj256ELj8ELj100EEvPKT0_PS4_
; %bb.0:
	s_clause 0x1
	s_load_b32 s4, s[0:1], 0x1c
	s_load_b128 s[0:3], s[0:1], 0x0
	v_mbcnt_lo_u32_b32 v8, -1, 0
	s_delay_alu instid0(VALU_DEP_1) | instskip(SKIP_3) | instid1(SALU_CYCLE_1)
	v_dual_mov_b32 v4, 0x7c :: v_dual_and_b32 v3, 7, v8
	v_cmp_eq_u32_e32 vcc_lo, 0, v8
	s_waitcnt lgkmcnt(0)
	s_and_b32 s4, s4, 0xffff
	s_mul_i32 s4, s15, s4
	s_delay_alu instid0(SALU_CYCLE_1) | instskip(SKIP_3) | instid1(VALU_DEP_1)
	v_add_lshl_u32 v1, s4, v0, 3
	global_load_b64 v[1:2], v1, s[0:1]
	v_cmp_gt_u32_e64 s0, 6, v3
	s_movk_i32 s1, 0x64
	v_cndmask_b32_e64 v5, 0, 1, s0
	v_cmp_gt_u32_e64 s0, 4, v3
	s_delay_alu instid0(VALU_DEP_2) | instskip(NEXT) | instid1(VALU_DEP_2)
	v_lshlrev_b32_e32 v9, 1, v5
	v_cndmask_b32_e64 v6, 0, 1, s0
	v_cmp_ne_u32_e64 s0, 7, v3
	v_lshrrev_b32_e32 v5, 5, v0
	s_delay_alu instid0(VALU_DEP_3) | instskip(NEXT) | instid1(VALU_DEP_3)
	v_lshlrev_b32_e32 v10, 2, v6
	v_add_co_ci_u32_e64 v7, s0, 0, v8, s0
	v_cmp_gt_u32_e64 s0, 32, v0
	s_delay_alu instid0(VALU_DEP_2)
	v_lshlrev_b32_e32 v6, 2, v7
	v_add_lshl_u32 v7, v9, v8, 2
	v_add_lshl_u32 v8, v10, v8, 2
	s_branch .LBB67_2
.LBB67_1:                               ;   in Loop: Header=BB67_2 Depth=1
	s_or_b32 exec_lo, exec_lo, s4
	s_delay_alu instid0(VALU_DEP_1) | instskip(SKIP_1) | instid1(SALU_CYCLE_1)
	v_perm_b32 v1, v9, v1, 0x3020104
	s_add_i32 s1, s1, -1
	s_cmp_eq_u32 s1, 0
	s_cbranch_scc1 .LBB67_6
.LBB67_2:                               ; =>This Inner Loop Header: Depth=1
	s_waitcnt vmcnt(0)
	v_lshrrev_b32_e32 v9, 8, v1
	v_lshrrev_b32_e32 v10, 16, v1
	;; [unrolled: 1-line block ×3, first 2 shown]
	s_delay_alu instid0(VALU_DEP_3) | instskip(NEXT) | instid1(VALU_DEP_1)
	v_add_nc_u16 v9, v9, v1
	v_add_nc_u16 v9, v9, v10
	v_lshrrev_b32_e32 v10, 8, v2
	s_delay_alu instid0(VALU_DEP_2) | instskip(SKIP_1) | instid1(VALU_DEP_2)
	v_add_nc_u16 v9, v9, v11
	v_lshrrev_b32_e32 v11, 16, v2
	v_add_nc_u16 v9, v9, v2
	s_delay_alu instid0(VALU_DEP_1) | instskip(SKIP_1) | instid1(VALU_DEP_2)
	v_add_nc_u16 v9, v9, v10
	v_lshrrev_b32_e32 v10, 24, v2
	v_add_nc_u16 v9, v9, v11
	s_delay_alu instid0(VALU_DEP_1) | instskip(NEXT) | instid1(VALU_DEP_1)
	v_add_nc_u16 v9, v9, v10
	v_and_b32_e32 v10, 0xff, v9
	s_delay_alu instid0(VALU_DEP_1) | instskip(NEXT) | instid1(VALU_DEP_1)
	v_mov_b32_dpp v10, v10 quad_perm:[1,0,3,2] row_mask:0xf bank_mask:0xf
	v_add_nc_u16 v9, v9, v10
	s_delay_alu instid0(VALU_DEP_1) | instskip(NEXT) | instid1(VALU_DEP_1)
	v_and_b32_e32 v10, 0xff, v9
	v_mov_b32_dpp v10, v10 quad_perm:[2,3,0,1] row_mask:0xf bank_mask:0xf
	s_delay_alu instid0(VALU_DEP_1) | instskip(NEXT) | instid1(VALU_DEP_1)
	v_add_nc_u16 v9, v9, v10
	v_and_b32_e32 v10, 0xff, v9
	s_delay_alu instid0(VALU_DEP_1) | instskip(NEXT) | instid1(VALU_DEP_1)
	v_mov_b32_dpp v10, v10 row_ror:4 row_mask:0xf bank_mask:0xf
	v_add_nc_u16 v9, v9, v10
	s_delay_alu instid0(VALU_DEP_1) | instskip(NEXT) | instid1(VALU_DEP_1)
	v_and_b32_e32 v10, 0xff, v9
	v_mov_b32_dpp v10, v10 row_ror:8 row_mask:0xf bank_mask:0xf
	s_delay_alu instid0(VALU_DEP_1) | instskip(NEXT) | instid1(VALU_DEP_1)
	v_add_nc_u16 v9, v9, v10
	v_and_b32_e32 v10, 0xff, v9
	ds_swizzle_b32 v10, v10 offset:swizzle(BROADCAST,32,15)
	s_waitcnt lgkmcnt(0)
	v_add_nc_u16 v9, v9, v10
	s_delay_alu instid0(VALU_DEP_1)
	v_and_b32_e32 v9, 0xff, v9
	ds_bpermute_b32 v9, v4, v9
	s_and_saveexec_b32 s4, vcc_lo
	s_cbranch_execz .LBB67_4
; %bb.3:                                ;   in Loop: Header=BB67_2 Depth=1
	s_waitcnt lgkmcnt(0)
	ds_store_b8 v5, v9
.LBB67_4:                               ;   in Loop: Header=BB67_2 Depth=1
	s_or_b32 exec_lo, exec_lo, s4
	s_waitcnt lgkmcnt(0)
	s_barrier
	buffer_gl0_inv
	s_and_saveexec_b32 s4, s0
	s_cbranch_execz .LBB67_1
; %bb.5:                                ;   in Loop: Header=BB67_2 Depth=1
	ds_load_u8 v9, v3
	s_waitcnt lgkmcnt(0)
	v_and_b32_e32 v10, 0xff, v9
	ds_bpermute_b32 v10, v6, v10
	s_waitcnt lgkmcnt(0)
	v_add_nc_u16 v9, v9, v10
	s_delay_alu instid0(VALU_DEP_1) | instskip(SKIP_3) | instid1(VALU_DEP_1)
	v_and_b32_e32 v10, 0xff, v9
	ds_bpermute_b32 v10, v7, v10
	s_waitcnt lgkmcnt(0)
	v_add_nc_u16 v9, v9, v10
	v_and_b32_e32 v10, 0xff, v9
	ds_bpermute_b32 v10, v8, v10
	s_waitcnt lgkmcnt(0)
	v_add_nc_u16 v9, v9, v10
	s_branch .LBB67_1
.LBB67_6:
	s_mov_b32 s0, exec_lo
	v_cmpx_eq_u32_e32 0, v0
	s_cbranch_execz .LBB67_8
; %bb.7:
	v_mov_b32_e32 v0, s15
	global_store_b8 v0, v9, s[2:3]
.LBB67_8:
	s_nop 0
	s_sendmsg sendmsg(MSG_DEALLOC_VGPRS)
	s_endpgm
	.section	.rodata,"a",@progbits
	.p2align	6, 0x0
	.amdhsa_kernel _Z6kernelI6reduceILN6hipcub20BlockReduceAlgorithmE0EEhLj256ELj8ELj100EEvPKT0_PS4_
		.amdhsa_group_segment_fixed_size 8
		.amdhsa_private_segment_fixed_size 0
		.amdhsa_kernarg_size 272
		.amdhsa_user_sgpr_count 15
		.amdhsa_user_sgpr_dispatch_ptr 0
		.amdhsa_user_sgpr_queue_ptr 0
		.amdhsa_user_sgpr_kernarg_segment_ptr 1
		.amdhsa_user_sgpr_dispatch_id 0
		.amdhsa_user_sgpr_private_segment_size 0
		.amdhsa_wavefront_size32 1
		.amdhsa_uses_dynamic_stack 0
		.amdhsa_enable_private_segment 0
		.amdhsa_system_sgpr_workgroup_id_x 1
		.amdhsa_system_sgpr_workgroup_id_y 0
		.amdhsa_system_sgpr_workgroup_id_z 0
		.amdhsa_system_sgpr_workgroup_info 0
		.amdhsa_system_vgpr_workitem_id 0
		.amdhsa_next_free_vgpr 12
		.amdhsa_next_free_sgpr 16
		.amdhsa_reserve_vcc 1
		.amdhsa_float_round_mode_32 0
		.amdhsa_float_round_mode_16_64 0
		.amdhsa_float_denorm_mode_32 3
		.amdhsa_float_denorm_mode_16_64 3
		.amdhsa_dx10_clamp 1
		.amdhsa_ieee_mode 1
		.amdhsa_fp16_overflow 0
		.amdhsa_workgroup_processor_mode 1
		.amdhsa_memory_ordered 1
		.amdhsa_forward_progress 0
		.amdhsa_shared_vgpr_count 0
		.amdhsa_exception_fp_ieee_invalid_op 0
		.amdhsa_exception_fp_denorm_src 0
		.amdhsa_exception_fp_ieee_div_zero 0
		.amdhsa_exception_fp_ieee_overflow 0
		.amdhsa_exception_fp_ieee_underflow 0
		.amdhsa_exception_fp_ieee_inexact 0
		.amdhsa_exception_int_div_zero 0
	.end_amdhsa_kernel
	.section	.text._Z6kernelI6reduceILN6hipcub20BlockReduceAlgorithmE0EEhLj256ELj8ELj100EEvPKT0_PS4_,"axG",@progbits,_Z6kernelI6reduceILN6hipcub20BlockReduceAlgorithmE0EEhLj256ELj8ELj100EEvPKT0_PS4_,comdat
.Lfunc_end67:
	.size	_Z6kernelI6reduceILN6hipcub20BlockReduceAlgorithmE0EEhLj256ELj8ELj100EEvPKT0_PS4_, .Lfunc_end67-_Z6kernelI6reduceILN6hipcub20BlockReduceAlgorithmE0EEhLj256ELj8ELj100EEvPKT0_PS4_
                                        ; -- End function
	.section	.AMDGPU.csdata,"",@progbits
; Kernel info:
; codeLenInByte = 680
; NumSgprs: 18
; NumVgprs: 12
; ScratchSize: 0
; MemoryBound: 0
; FloatMode: 240
; IeeeMode: 1
; LDSByteSize: 8 bytes/workgroup (compile time only)
; SGPRBlocks: 2
; VGPRBlocks: 1
; NumSGPRsForWavesPerEU: 18
; NumVGPRsForWavesPerEU: 12
; Occupancy: 16
; WaveLimiterHint : 0
; COMPUTE_PGM_RSRC2:SCRATCH_EN: 0
; COMPUTE_PGM_RSRC2:USER_SGPR: 15
; COMPUTE_PGM_RSRC2:TRAP_HANDLER: 0
; COMPUTE_PGM_RSRC2:TGID_X_EN: 1
; COMPUTE_PGM_RSRC2:TGID_Y_EN: 0
; COMPUTE_PGM_RSRC2:TGID_Z_EN: 0
; COMPUTE_PGM_RSRC2:TIDIG_COMP_CNT: 0
	.section	.text._Z6kernelI6reduceILN6hipcub20BlockReduceAlgorithmE0EEhLj256ELj11ELj100EEvPKT0_PS4_,"axG",@progbits,_Z6kernelI6reduceILN6hipcub20BlockReduceAlgorithmE0EEhLj256ELj11ELj100EEvPKT0_PS4_,comdat
	.protected	_Z6kernelI6reduceILN6hipcub20BlockReduceAlgorithmE0EEhLj256ELj11ELj100EEvPKT0_PS4_ ; -- Begin function _Z6kernelI6reduceILN6hipcub20BlockReduceAlgorithmE0EEhLj256ELj11ELj100EEvPKT0_PS4_
	.globl	_Z6kernelI6reduceILN6hipcub20BlockReduceAlgorithmE0EEhLj256ELj11ELj100EEvPKT0_PS4_
	.p2align	8
	.type	_Z6kernelI6reduceILN6hipcub20BlockReduceAlgorithmE0EEhLj256ELj11ELj100EEvPKT0_PS4_,@function
_Z6kernelI6reduceILN6hipcub20BlockReduceAlgorithmE0EEhLj256ELj11ELj100EEvPKT0_PS4_: ; @_Z6kernelI6reduceILN6hipcub20BlockReduceAlgorithmE0EEhLj256ELj11ELj100EEvPKT0_PS4_
; %bb.0:
	s_load_b32 s2, s[0:1], 0x1c
	v_mbcnt_lo_u32_b32 v15, -1, 0
	s_delay_alu instid0(VALU_DEP_1) | instskip(SKIP_2) | instid1(SALU_CYCLE_1)
	v_cmp_eq_u32_e32 vcc_lo, 0, v15
	s_waitcnt lgkmcnt(0)
	s_and_b32 s2, s2, 0xffff
	v_mad_u64_u32 v[1:2], null, s15, s2, v[0:1]
	s_load_b128 s[0:3], s[0:1], 0x0
	s_delay_alu instid0(VALU_DEP_1) | instskip(NEXT) | instid1(VALU_DEP_1)
	v_mul_lo_u32 v1, v1, 11
	v_add_nc_u32_e32 v2, 1, v1
	v_add_nc_u32_e32 v4, 3, v1
	;; [unrolled: 1-line block ×7, first 2 shown]
	s_waitcnt lgkmcnt(0)
	s_clause 0x7
	global_load_u8 v9, v2, s[0:1]
	global_load_u8 v10, v4, s[0:1]
	;; [unrolled: 1-line block ×8, first 2 shown]
	v_dual_mov_b32 v5, 0x7c :: v_dual_add_nc_u32 v2, 8, v1
	v_add_nc_u32_e32 v3, 9, v1
	v_add_nc_u32_e32 v4, 10, v1
	s_clause 0x2
	global_load_u8 v1, v2, s[0:1]
	global_load_u8 v2, v3, s[0:1]
	;; [unrolled: 1-line block ×3, first 2 shown]
	v_and_b32_e32 v4, 7, v15
	v_cmp_gt_u32_e64 s0, 32, v0
	v_lshrrev_b32_e32 v6, 5, v0
	s_delay_alu instid0(VALU_DEP_3) | instskip(NEXT) | instid1(VALU_DEP_1)
	v_cmp_ne_u32_e64 s1, 7, v4
	v_add_co_ci_u32_e64 v16, s1, 0, v15, s1
	v_cmp_gt_u32_e64 s1, 6, v4
	s_delay_alu instid0(VALU_DEP_1) | instskip(SKIP_1) | instid1(VALU_DEP_2)
	v_cndmask_b32_e64 v17, 0, 1, s1
	v_cmp_gt_u32_e64 s1, 4, v4
	v_lshlrev_b32_e32 v17, 1, v17
	s_delay_alu instid0(VALU_DEP_2)
	v_cndmask_b32_e64 v18, 0, 1, s1
	s_movk_i32 s1, 0x64
	s_waitcnt vmcnt(10)
	v_lshlrev_b16 v9, 8, v9
	s_waitcnt vmcnt(9)
	v_lshlrev_b16 v10, 8, v10
	;; [unrolled: 2-line block ×4, first 2 shown]
	s_waitcnt vmcnt(6)
	v_or_b32_e32 v9, v12, v9
	s_waitcnt vmcnt(5)
	v_or_b32_e32 v10, v13, v10
	;; [unrolled: 2-line block ×4, first 2 shown]
	v_lshlrev_b32_e32 v12, 2, v18
	v_and_b32_e32 v13, 0xffff, v9
	v_lshlrev_b32_e32 v10, 16, v10
	v_and_b32_e32 v11, 0xffff, v11
	v_lshlrev_b32_e32 v14, 16, v7
	v_lshlrev_b32_e32 v7, 2, v16
	v_add_lshl_u32 v8, v17, v15, 2
	v_add_lshl_u32 v9, v12, v15, 2
	v_or_b32_e32 v10, v13, v10
	v_or_b32_e32 v11, v11, v14
	s_branch .LBB68_2
.LBB68_1:                               ;   in Loop: Header=BB68_2 Depth=1
	s_or_b32 exec_lo, exec_lo, s4
	s_delay_alu instid0(VALU_DEP_1) | instskip(SKIP_1) | instid1(SALU_CYCLE_1)
	v_perm_b32 v10, v12, v10, 0x3020104
	s_add_i32 s1, s1, -1
	s_cmp_eq_u32 s1, 0
	s_cbranch_scc1 .LBB68_6
.LBB68_2:                               ; =>This Inner Loop Header: Depth=1
	s_delay_alu instid0(VALU_DEP_1) | instskip(SKIP_2) | instid1(VALU_DEP_3)
	v_lshrrev_b32_e32 v12, 8, v10
	v_lshrrev_b32_e32 v13, 16, v10
	;; [unrolled: 1-line block ×3, first 2 shown]
	v_add_nc_u16 v12, v12, v10
	s_delay_alu instid0(VALU_DEP_1) | instskip(SKIP_1) | instid1(VALU_DEP_2)
	v_add_nc_u16 v12, v12, v13
	v_lshrrev_b32_e32 v13, 8, v11
	v_add_nc_u16 v12, v12, v14
	v_lshrrev_b32_e32 v14, 16, v11
	s_delay_alu instid0(VALU_DEP_2) | instskip(NEXT) | instid1(VALU_DEP_1)
	v_add_nc_u16 v12, v12, v11
	v_add_nc_u16 v12, v12, v13
	v_lshrrev_b32_e32 v13, 24, v11
	s_delay_alu instid0(VALU_DEP_2) | instskip(NEXT) | instid1(VALU_DEP_1)
	v_add_nc_u16 v12, v12, v14
	v_add_nc_u16 v12, v12, v13
	s_waitcnt vmcnt(2)
	s_delay_alu instid0(VALU_DEP_1) | instskip(SKIP_1) | instid1(VALU_DEP_1)
	v_add_nc_u16 v12, v12, v1
	s_waitcnt vmcnt(1)
	v_add_nc_u16 v12, v12, v2
	s_waitcnt vmcnt(0)
	s_delay_alu instid0(VALU_DEP_1) | instskip(NEXT) | instid1(VALU_DEP_1)
	v_add_nc_u16 v12, v12, v3
	v_and_b32_e32 v13, 0xff, v12
	s_delay_alu instid0(VALU_DEP_1) | instskip(NEXT) | instid1(VALU_DEP_1)
	v_mov_b32_dpp v13, v13 quad_perm:[1,0,3,2] row_mask:0xf bank_mask:0xf
	v_add_nc_u16 v12, v12, v13
	s_delay_alu instid0(VALU_DEP_1) | instskip(NEXT) | instid1(VALU_DEP_1)
	v_and_b32_e32 v13, 0xff, v12
	v_mov_b32_dpp v13, v13 quad_perm:[2,3,0,1] row_mask:0xf bank_mask:0xf
	s_delay_alu instid0(VALU_DEP_1) | instskip(NEXT) | instid1(VALU_DEP_1)
	v_add_nc_u16 v12, v12, v13
	v_and_b32_e32 v13, 0xff, v12
	s_delay_alu instid0(VALU_DEP_1) | instskip(NEXT) | instid1(VALU_DEP_1)
	v_mov_b32_dpp v13, v13 row_ror:4 row_mask:0xf bank_mask:0xf
	v_add_nc_u16 v12, v12, v13
	s_delay_alu instid0(VALU_DEP_1) | instskip(NEXT) | instid1(VALU_DEP_1)
	v_and_b32_e32 v13, 0xff, v12
	v_mov_b32_dpp v13, v13 row_ror:8 row_mask:0xf bank_mask:0xf
	s_delay_alu instid0(VALU_DEP_1) | instskip(NEXT) | instid1(VALU_DEP_1)
	v_add_nc_u16 v12, v12, v13
	v_and_b32_e32 v13, 0xff, v12
	ds_swizzle_b32 v13, v13 offset:swizzle(BROADCAST,32,15)
	s_waitcnt lgkmcnt(0)
	v_add_nc_u16 v12, v12, v13
	s_delay_alu instid0(VALU_DEP_1)
	v_and_b32_e32 v12, 0xff, v12
	ds_bpermute_b32 v12, v5, v12
	s_and_saveexec_b32 s4, vcc_lo
	s_cbranch_execz .LBB68_4
; %bb.3:                                ;   in Loop: Header=BB68_2 Depth=1
	s_waitcnt lgkmcnt(0)
	ds_store_b8 v6, v12
.LBB68_4:                               ;   in Loop: Header=BB68_2 Depth=1
	s_or_b32 exec_lo, exec_lo, s4
	s_waitcnt lgkmcnt(0)
	s_barrier
	buffer_gl0_inv
	s_and_saveexec_b32 s4, s0
	s_cbranch_execz .LBB68_1
; %bb.5:                                ;   in Loop: Header=BB68_2 Depth=1
	ds_load_u8 v12, v4
	s_waitcnt lgkmcnt(0)
	v_and_b32_e32 v13, 0xff, v12
	ds_bpermute_b32 v13, v7, v13
	s_waitcnt lgkmcnt(0)
	v_add_nc_u16 v12, v12, v13
	s_delay_alu instid0(VALU_DEP_1) | instskip(SKIP_3) | instid1(VALU_DEP_1)
	v_and_b32_e32 v13, 0xff, v12
	ds_bpermute_b32 v13, v8, v13
	s_waitcnt lgkmcnt(0)
	v_add_nc_u16 v12, v12, v13
	v_and_b32_e32 v13, 0xff, v12
	ds_bpermute_b32 v13, v9, v13
	s_waitcnt lgkmcnt(0)
	v_add_nc_u16 v12, v12, v13
	s_branch .LBB68_1
.LBB68_6:
	s_mov_b32 s0, exec_lo
	v_cmpx_eq_u32_e32 0, v0
	s_cbranch_execz .LBB68_8
; %bb.7:
	v_mov_b32_e32 v0, s15
	global_store_b8 v0, v12, s[2:3]
.LBB68_8:
	s_nop 0
	s_sendmsg sendmsg(MSG_DEALLOC_VGPRS)
	s_endpgm
	.section	.rodata,"a",@progbits
	.p2align	6, 0x0
	.amdhsa_kernel _Z6kernelI6reduceILN6hipcub20BlockReduceAlgorithmE0EEhLj256ELj11ELj100EEvPKT0_PS4_
		.amdhsa_group_segment_fixed_size 8
		.amdhsa_private_segment_fixed_size 0
		.amdhsa_kernarg_size 272
		.amdhsa_user_sgpr_count 15
		.amdhsa_user_sgpr_dispatch_ptr 0
		.amdhsa_user_sgpr_queue_ptr 0
		.amdhsa_user_sgpr_kernarg_segment_ptr 1
		.amdhsa_user_sgpr_dispatch_id 0
		.amdhsa_user_sgpr_private_segment_size 0
		.amdhsa_wavefront_size32 1
		.amdhsa_uses_dynamic_stack 0
		.amdhsa_enable_private_segment 0
		.amdhsa_system_sgpr_workgroup_id_x 1
		.amdhsa_system_sgpr_workgroup_id_y 0
		.amdhsa_system_sgpr_workgroup_id_z 0
		.amdhsa_system_sgpr_workgroup_info 0
		.amdhsa_system_vgpr_workitem_id 0
		.amdhsa_next_free_vgpr 19
		.amdhsa_next_free_sgpr 16
		.amdhsa_reserve_vcc 1
		.amdhsa_float_round_mode_32 0
		.amdhsa_float_round_mode_16_64 0
		.amdhsa_float_denorm_mode_32 3
		.amdhsa_float_denorm_mode_16_64 3
		.amdhsa_dx10_clamp 1
		.amdhsa_ieee_mode 1
		.amdhsa_fp16_overflow 0
		.amdhsa_workgroup_processor_mode 1
		.amdhsa_memory_ordered 1
		.amdhsa_forward_progress 0
		.amdhsa_shared_vgpr_count 0
		.amdhsa_exception_fp_ieee_invalid_op 0
		.amdhsa_exception_fp_denorm_src 0
		.amdhsa_exception_fp_ieee_div_zero 0
		.amdhsa_exception_fp_ieee_overflow 0
		.amdhsa_exception_fp_ieee_underflow 0
		.amdhsa_exception_fp_ieee_inexact 0
		.amdhsa_exception_int_div_zero 0
	.end_amdhsa_kernel
	.section	.text._Z6kernelI6reduceILN6hipcub20BlockReduceAlgorithmE0EEhLj256ELj11ELj100EEvPKT0_PS4_,"axG",@progbits,_Z6kernelI6reduceILN6hipcub20BlockReduceAlgorithmE0EEhLj256ELj11ELj100EEvPKT0_PS4_,comdat
.Lfunc_end68:
	.size	_Z6kernelI6reduceILN6hipcub20BlockReduceAlgorithmE0EEhLj256ELj11ELj100EEvPKT0_PS4_, .Lfunc_end68-_Z6kernelI6reduceILN6hipcub20BlockReduceAlgorithmE0EEhLj256ELj11ELj100EEvPKT0_PS4_
                                        ; -- End function
	.section	.AMDGPU.csdata,"",@progbits
; Kernel info:
; codeLenInByte = 964
; NumSgprs: 18
; NumVgprs: 19
; ScratchSize: 0
; MemoryBound: 0
; FloatMode: 240
; IeeeMode: 1
; LDSByteSize: 8 bytes/workgroup (compile time only)
; SGPRBlocks: 2
; VGPRBlocks: 2
; NumSGPRsForWavesPerEU: 18
; NumVGPRsForWavesPerEU: 19
; Occupancy: 16
; WaveLimiterHint : 0
; COMPUTE_PGM_RSRC2:SCRATCH_EN: 0
; COMPUTE_PGM_RSRC2:USER_SGPR: 15
; COMPUTE_PGM_RSRC2:TRAP_HANDLER: 0
; COMPUTE_PGM_RSRC2:TGID_X_EN: 1
; COMPUTE_PGM_RSRC2:TGID_Y_EN: 0
; COMPUTE_PGM_RSRC2:TGID_Z_EN: 0
; COMPUTE_PGM_RSRC2:TIDIG_COMP_CNT: 0
	.section	.text._Z6kernelI6reduceILN6hipcub20BlockReduceAlgorithmE0EEhLj256ELj16ELj100EEvPKT0_PS4_,"axG",@progbits,_Z6kernelI6reduceILN6hipcub20BlockReduceAlgorithmE0EEhLj256ELj16ELj100EEvPKT0_PS4_,comdat
	.protected	_Z6kernelI6reduceILN6hipcub20BlockReduceAlgorithmE0EEhLj256ELj16ELj100EEvPKT0_PS4_ ; -- Begin function _Z6kernelI6reduceILN6hipcub20BlockReduceAlgorithmE0EEhLj256ELj16ELj100EEvPKT0_PS4_
	.globl	_Z6kernelI6reduceILN6hipcub20BlockReduceAlgorithmE0EEhLj256ELj16ELj100EEvPKT0_PS4_
	.p2align	8
	.type	_Z6kernelI6reduceILN6hipcub20BlockReduceAlgorithmE0EEhLj256ELj16ELj100EEvPKT0_PS4_,@function
_Z6kernelI6reduceILN6hipcub20BlockReduceAlgorithmE0EEhLj256ELj16ELj100EEvPKT0_PS4_: ; @_Z6kernelI6reduceILN6hipcub20BlockReduceAlgorithmE0EEhLj256ELj16ELj100EEvPKT0_PS4_
; %bb.0:
	s_clause 0x1
	s_load_b32 s4, s[0:1], 0x1c
	s_load_b128 s[0:3], s[0:1], 0x0
	v_mbcnt_lo_u32_b32 v10, -1, 0
	s_delay_alu instid0(VALU_DEP_1) | instskip(SKIP_3) | instid1(SALU_CYCLE_1)
	v_dual_mov_b32 v6, 0x7c :: v_dual_and_b32 v5, 7, v10
	v_cmp_eq_u32_e32 vcc_lo, 0, v10
	s_waitcnt lgkmcnt(0)
	s_and_b32 s4, s4, 0xffff
	s_mul_i32 s4, s15, s4
	s_delay_alu instid0(SALU_CYCLE_1) | instskip(SKIP_3) | instid1(VALU_DEP_1)
	v_add_lshl_u32 v1, s4, v0, 4
	global_load_b128 v[1:4], v1, s[0:1]
	v_cmp_gt_u32_e64 s0, 6, v5
	s_movk_i32 s1, 0x64
	v_cndmask_b32_e64 v7, 0, 1, s0
	v_cmp_gt_u32_e64 s0, 4, v5
	s_delay_alu instid0(VALU_DEP_2) | instskip(NEXT) | instid1(VALU_DEP_2)
	v_lshlrev_b32_e32 v11, 1, v7
	v_cndmask_b32_e64 v8, 0, 1, s0
	v_cmp_ne_u32_e64 s0, 7, v5
	v_lshrrev_b32_e32 v7, 5, v0
	s_delay_alu instid0(VALU_DEP_3) | instskip(NEXT) | instid1(VALU_DEP_3)
	v_lshlrev_b32_e32 v12, 2, v8
	v_add_co_ci_u32_e64 v9, s0, 0, v10, s0
	v_cmp_gt_u32_e64 s0, 32, v0
	s_delay_alu instid0(VALU_DEP_2)
	v_lshlrev_b32_e32 v8, 2, v9
	v_add_lshl_u32 v9, v11, v10, 2
	v_add_lshl_u32 v10, v12, v10, 2
	s_branch .LBB69_2
.LBB69_1:                               ;   in Loop: Header=BB69_2 Depth=1
	s_or_b32 exec_lo, exec_lo, s4
	s_delay_alu instid0(VALU_DEP_1) | instskip(SKIP_1) | instid1(SALU_CYCLE_1)
	v_perm_b32 v1, v11, v1, 0x3020104
	s_add_i32 s1, s1, -1
	s_cmp_eq_u32 s1, 0
	s_cbranch_scc1 .LBB69_6
.LBB69_2:                               ; =>This Inner Loop Header: Depth=1
	s_waitcnt vmcnt(0)
	v_lshrrev_b32_e32 v11, 8, v1
	v_lshrrev_b32_e32 v12, 16, v1
	;; [unrolled: 1-line block ×3, first 2 shown]
	s_delay_alu instid0(VALU_DEP_3) | instskip(NEXT) | instid1(VALU_DEP_1)
	v_add_nc_u16 v11, v11, v1
	v_add_nc_u16 v11, v11, v12
	v_lshrrev_b32_e32 v12, 8, v2
	s_delay_alu instid0(VALU_DEP_2) | instskip(SKIP_1) | instid1(VALU_DEP_2)
	v_add_nc_u16 v11, v11, v13
	v_lshrrev_b32_e32 v13, 16, v2
	v_add_nc_u16 v11, v11, v2
	s_delay_alu instid0(VALU_DEP_1) | instskip(SKIP_1) | instid1(VALU_DEP_2)
	v_add_nc_u16 v11, v11, v12
	v_lshrrev_b32_e32 v12, 24, v2
	v_add_nc_u16 v11, v11, v13
	v_lshrrev_b32_e32 v13, 16, v3
	s_delay_alu instid0(VALU_DEP_2) | instskip(SKIP_1) | instid1(VALU_DEP_2)
	v_add_nc_u16 v11, v11, v12
	v_lshrrev_b32_e32 v12, 8, v3
	v_add_nc_u16 v11, v11, v3
	s_delay_alu instid0(VALU_DEP_1) | instskip(SKIP_1) | instid1(VALU_DEP_2)
	v_add_nc_u16 v11, v11, v12
	v_lshrrev_b32_e32 v12, 24, v3
	;; [unrolled: 9-line block ×3, first 2 shown]
	v_add_nc_u16 v11, v11, v13
	s_delay_alu instid0(VALU_DEP_1) | instskip(NEXT) | instid1(VALU_DEP_1)
	v_add_nc_u16 v11, v11, v12
	v_and_b32_e32 v12, 0xff, v11
	s_delay_alu instid0(VALU_DEP_1) | instskip(NEXT) | instid1(VALU_DEP_1)
	v_mov_b32_dpp v12, v12 quad_perm:[1,0,3,2] row_mask:0xf bank_mask:0xf
	v_add_nc_u16 v11, v11, v12
	s_delay_alu instid0(VALU_DEP_1) | instskip(NEXT) | instid1(VALU_DEP_1)
	v_and_b32_e32 v12, 0xff, v11
	v_mov_b32_dpp v12, v12 quad_perm:[2,3,0,1] row_mask:0xf bank_mask:0xf
	s_delay_alu instid0(VALU_DEP_1) | instskip(NEXT) | instid1(VALU_DEP_1)
	v_add_nc_u16 v11, v11, v12
	v_and_b32_e32 v12, 0xff, v11
	s_delay_alu instid0(VALU_DEP_1) | instskip(NEXT) | instid1(VALU_DEP_1)
	v_mov_b32_dpp v12, v12 row_ror:4 row_mask:0xf bank_mask:0xf
	v_add_nc_u16 v11, v11, v12
	s_delay_alu instid0(VALU_DEP_1) | instskip(NEXT) | instid1(VALU_DEP_1)
	v_and_b32_e32 v12, 0xff, v11
	v_mov_b32_dpp v12, v12 row_ror:8 row_mask:0xf bank_mask:0xf
	s_delay_alu instid0(VALU_DEP_1) | instskip(NEXT) | instid1(VALU_DEP_1)
	v_add_nc_u16 v11, v11, v12
	v_and_b32_e32 v12, 0xff, v11
	ds_swizzle_b32 v12, v12 offset:swizzle(BROADCAST,32,15)
	s_waitcnt lgkmcnt(0)
	v_add_nc_u16 v11, v11, v12
	s_delay_alu instid0(VALU_DEP_1)
	v_and_b32_e32 v11, 0xff, v11
	ds_bpermute_b32 v11, v6, v11
	s_and_saveexec_b32 s4, vcc_lo
	s_cbranch_execz .LBB69_4
; %bb.3:                                ;   in Loop: Header=BB69_2 Depth=1
	s_waitcnt lgkmcnt(0)
	ds_store_b8 v7, v11
.LBB69_4:                               ;   in Loop: Header=BB69_2 Depth=1
	s_or_b32 exec_lo, exec_lo, s4
	s_waitcnt lgkmcnt(0)
	s_barrier
	buffer_gl0_inv
	s_and_saveexec_b32 s4, s0
	s_cbranch_execz .LBB69_1
; %bb.5:                                ;   in Loop: Header=BB69_2 Depth=1
	ds_load_u8 v11, v5
	s_waitcnt lgkmcnt(0)
	v_and_b32_e32 v12, 0xff, v11
	ds_bpermute_b32 v12, v8, v12
	s_waitcnt lgkmcnt(0)
	v_add_nc_u16 v11, v11, v12
	s_delay_alu instid0(VALU_DEP_1) | instskip(SKIP_3) | instid1(VALU_DEP_1)
	v_and_b32_e32 v12, 0xff, v11
	ds_bpermute_b32 v12, v9, v12
	s_waitcnt lgkmcnt(0)
	v_add_nc_u16 v11, v11, v12
	v_and_b32_e32 v12, 0xff, v11
	ds_bpermute_b32 v12, v10, v12
	s_waitcnt lgkmcnt(0)
	v_add_nc_u16 v11, v11, v12
	s_branch .LBB69_1
.LBB69_6:
	s_mov_b32 s0, exec_lo
	v_cmpx_eq_u32_e32 0, v0
	s_cbranch_execz .LBB69_8
; %bb.7:
	v_mov_b32_e32 v0, s15
	global_store_b8 v0, v11, s[2:3]
.LBB69_8:
	s_nop 0
	s_sendmsg sendmsg(MSG_DEALLOC_VGPRS)
	s_endpgm
	.section	.rodata,"a",@progbits
	.p2align	6, 0x0
	.amdhsa_kernel _Z6kernelI6reduceILN6hipcub20BlockReduceAlgorithmE0EEhLj256ELj16ELj100EEvPKT0_PS4_
		.amdhsa_group_segment_fixed_size 8
		.amdhsa_private_segment_fixed_size 0
		.amdhsa_kernarg_size 272
		.amdhsa_user_sgpr_count 15
		.amdhsa_user_sgpr_dispatch_ptr 0
		.amdhsa_user_sgpr_queue_ptr 0
		.amdhsa_user_sgpr_kernarg_segment_ptr 1
		.amdhsa_user_sgpr_dispatch_id 0
		.amdhsa_user_sgpr_private_segment_size 0
		.amdhsa_wavefront_size32 1
		.amdhsa_uses_dynamic_stack 0
		.amdhsa_enable_private_segment 0
		.amdhsa_system_sgpr_workgroup_id_x 1
		.amdhsa_system_sgpr_workgroup_id_y 0
		.amdhsa_system_sgpr_workgroup_id_z 0
		.amdhsa_system_sgpr_workgroup_info 0
		.amdhsa_system_vgpr_workitem_id 0
		.amdhsa_next_free_vgpr 14
		.amdhsa_next_free_sgpr 16
		.amdhsa_reserve_vcc 1
		.amdhsa_float_round_mode_32 0
		.amdhsa_float_round_mode_16_64 0
		.amdhsa_float_denorm_mode_32 3
		.amdhsa_float_denorm_mode_16_64 3
		.amdhsa_dx10_clamp 1
		.amdhsa_ieee_mode 1
		.amdhsa_fp16_overflow 0
		.amdhsa_workgroup_processor_mode 1
		.amdhsa_memory_ordered 1
		.amdhsa_forward_progress 0
		.amdhsa_shared_vgpr_count 0
		.amdhsa_exception_fp_ieee_invalid_op 0
		.amdhsa_exception_fp_denorm_src 0
		.amdhsa_exception_fp_ieee_div_zero 0
		.amdhsa_exception_fp_ieee_overflow 0
		.amdhsa_exception_fp_ieee_underflow 0
		.amdhsa_exception_fp_ieee_inexact 0
		.amdhsa_exception_int_div_zero 0
	.end_amdhsa_kernel
	.section	.text._Z6kernelI6reduceILN6hipcub20BlockReduceAlgorithmE0EEhLj256ELj16ELj100EEvPKT0_PS4_,"axG",@progbits,_Z6kernelI6reduceILN6hipcub20BlockReduceAlgorithmE0EEhLj256ELj16ELj100EEvPKT0_PS4_,comdat
.Lfunc_end69:
	.size	_Z6kernelI6reduceILN6hipcub20BlockReduceAlgorithmE0EEhLj256ELj16ELj100EEvPKT0_PS4_, .Lfunc_end69-_Z6kernelI6reduceILN6hipcub20BlockReduceAlgorithmE0EEhLj256ELj16ELj100EEvPKT0_PS4_
                                        ; -- End function
	.section	.AMDGPU.csdata,"",@progbits
; Kernel info:
; codeLenInByte = 784
; NumSgprs: 18
; NumVgprs: 14
; ScratchSize: 0
; MemoryBound: 0
; FloatMode: 240
; IeeeMode: 1
; LDSByteSize: 8 bytes/workgroup (compile time only)
; SGPRBlocks: 2
; VGPRBlocks: 1
; NumSGPRsForWavesPerEU: 18
; NumVGPRsForWavesPerEU: 14
; Occupancy: 16
; WaveLimiterHint : 0
; COMPUTE_PGM_RSRC2:SCRATCH_EN: 0
; COMPUTE_PGM_RSRC2:USER_SGPR: 15
; COMPUTE_PGM_RSRC2:TRAP_HANDLER: 0
; COMPUTE_PGM_RSRC2:TGID_X_EN: 1
; COMPUTE_PGM_RSRC2:TGID_Y_EN: 0
; COMPUTE_PGM_RSRC2:TGID_Z_EN: 0
; COMPUTE_PGM_RSRC2:TIDIG_COMP_CNT: 0
	.section	.text._Z6kernelI6reduceILN6hipcub20BlockReduceAlgorithmE1EEiLj64ELj1ELj100EEvPKT0_PS4_,"axG",@progbits,_Z6kernelI6reduceILN6hipcub20BlockReduceAlgorithmE1EEiLj64ELj1ELj100EEvPKT0_PS4_,comdat
	.protected	_Z6kernelI6reduceILN6hipcub20BlockReduceAlgorithmE1EEiLj64ELj1ELj100EEvPKT0_PS4_ ; -- Begin function _Z6kernelI6reduceILN6hipcub20BlockReduceAlgorithmE1EEiLj64ELj1ELj100EEvPKT0_PS4_
	.globl	_Z6kernelI6reduceILN6hipcub20BlockReduceAlgorithmE1EEiLj64ELj1ELj100EEvPKT0_PS4_
	.p2align	8
	.type	_Z6kernelI6reduceILN6hipcub20BlockReduceAlgorithmE1EEiLj64ELj1ELj100EEvPKT0_PS4_,@function
_Z6kernelI6reduceILN6hipcub20BlockReduceAlgorithmE1EEiLj64ELj1ELj100EEvPKT0_PS4_: ; @_Z6kernelI6reduceILN6hipcub20BlockReduceAlgorithmE1EEiLj64ELj1ELj100EEvPKT0_PS4_
; %bb.0:
	s_clause 0x1
	s_load_b32 s5, s[0:1], 0x1c
	s_load_b128 s[0:3], s[0:1], 0x0
	s_mov_b32 s4, s15
	v_mov_b32_e32 v3, 0x7c
	s_waitcnt lgkmcnt(0)
	s_and_b32 s5, s5, 0xffff
	s_delay_alu instid0(SALU_CYCLE_1) | instskip(SKIP_1) | instid1(VALU_DEP_1)
	v_mad_u64_u32 v[1:2], null, s4, s5, v[0:1]
	v_mov_b32_e32 v2, 0
	v_lshlrev_b64 v[1:2], 2, v[1:2]
	s_delay_alu instid0(VALU_DEP_1) | instskip(NEXT) | instid1(VALU_DEP_2)
	v_add_co_u32 v1, vcc_lo, s0, v1
	v_add_co_ci_u32_e32 v2, vcc_lo, s1, v2, vcc_lo
	s_movk_i32 s0, 0x64
	global_load_b32 v1, v[1:2], off
	v_lshlrev_b32_e32 v2, 2, v0
	s_delay_alu instid0(VALU_DEP_1)
	v_add_nc_u32_e32 v4, v2, v2
	.p2align	6
.LBB70_1:                               ; =>This Inner Loop Header: Depth=1
	s_waitcnt vmcnt(0) lgkmcnt(0)
	ds_store_b32 v2, v1
	s_waitcnt lgkmcnt(0)
	s_barrier
	buffer_gl0_inv
	ds_load_b64 v[5:6], v4
	s_add_i32 s0, s0, -1
	s_delay_alu instid0(SALU_CYCLE_1) | instskip(SKIP_2) | instid1(VALU_DEP_1)
	s_cmp_eq_u32 s0, 0
	s_waitcnt lgkmcnt(0)
	v_add_nc_u32_e32 v1, v6, v5
	v_mov_b32_dpp v5, v1 quad_perm:[1,0,3,2] row_mask:0xf bank_mask:0xf
	s_delay_alu instid0(VALU_DEP_1) | instskip(NEXT) | instid1(VALU_DEP_1)
	v_add_nc_u32_e32 v1, v5, v1
	v_mov_b32_dpp v5, v1 quad_perm:[2,3,0,1] row_mask:0xf bank_mask:0xf
	s_delay_alu instid0(VALU_DEP_1) | instskip(NEXT) | instid1(VALU_DEP_1)
	v_add_nc_u32_e32 v1, v1, v5
	v_mov_b32_dpp v5, v1 row_ror:4 row_mask:0xf bank_mask:0xf
	s_delay_alu instid0(VALU_DEP_1) | instskip(NEXT) | instid1(VALU_DEP_1)
	v_add_nc_u32_e32 v1, v1, v5
	v_mov_b32_dpp v5, v1 row_ror:8 row_mask:0xf bank_mask:0xf
	s_delay_alu instid0(VALU_DEP_1)
	v_add_nc_u32_e32 v1, v1, v5
	ds_swizzle_b32 v5, v1 offset:swizzle(BROADCAST,32,15)
	s_waitcnt lgkmcnt(0)
	v_add_nc_u32_e32 v1, v1, v5
	ds_bpermute_b32 v1, v3, v1
	s_cbranch_scc0 .LBB70_1
; %bb.2:
	s_mov_b32 s5, 0
	s_mov_b32 s0, exec_lo
	v_cmpx_eq_u32_e32 0, v0
	s_cbranch_execz .LBB70_4
; %bb.3:
	s_lshl_b64 s[0:1], s[4:5], 2
	v_mov_b32_e32 v0, 0
	s_add_u32 s0, s2, s0
	s_addc_u32 s1, s3, s1
	s_waitcnt lgkmcnt(0)
	global_store_b32 v0, v1, s[0:1]
.LBB70_4:
	s_nop 0
	s_sendmsg sendmsg(MSG_DEALLOC_VGPRS)
	s_endpgm
	.section	.rodata,"a",@progbits
	.p2align	6, 0x0
	.amdhsa_kernel _Z6kernelI6reduceILN6hipcub20BlockReduceAlgorithmE1EEiLj64ELj1ELj100EEvPKT0_PS4_
		.amdhsa_group_segment_fixed_size 256
		.amdhsa_private_segment_fixed_size 0
		.amdhsa_kernarg_size 272
		.amdhsa_user_sgpr_count 15
		.amdhsa_user_sgpr_dispatch_ptr 0
		.amdhsa_user_sgpr_queue_ptr 0
		.amdhsa_user_sgpr_kernarg_segment_ptr 1
		.amdhsa_user_sgpr_dispatch_id 0
		.amdhsa_user_sgpr_private_segment_size 0
		.amdhsa_wavefront_size32 1
		.amdhsa_uses_dynamic_stack 0
		.amdhsa_enable_private_segment 0
		.amdhsa_system_sgpr_workgroup_id_x 1
		.amdhsa_system_sgpr_workgroup_id_y 0
		.amdhsa_system_sgpr_workgroup_id_z 0
		.amdhsa_system_sgpr_workgroup_info 0
		.amdhsa_system_vgpr_workitem_id 0
		.amdhsa_next_free_vgpr 7
		.amdhsa_next_free_sgpr 16
		.amdhsa_reserve_vcc 1
		.amdhsa_float_round_mode_32 0
		.amdhsa_float_round_mode_16_64 0
		.amdhsa_float_denorm_mode_32 3
		.amdhsa_float_denorm_mode_16_64 3
		.amdhsa_dx10_clamp 1
		.amdhsa_ieee_mode 1
		.amdhsa_fp16_overflow 0
		.amdhsa_workgroup_processor_mode 1
		.amdhsa_memory_ordered 1
		.amdhsa_forward_progress 0
		.amdhsa_shared_vgpr_count 0
		.amdhsa_exception_fp_ieee_invalid_op 0
		.amdhsa_exception_fp_denorm_src 0
		.amdhsa_exception_fp_ieee_div_zero 0
		.amdhsa_exception_fp_ieee_overflow 0
		.amdhsa_exception_fp_ieee_underflow 0
		.amdhsa_exception_fp_ieee_inexact 0
		.amdhsa_exception_int_div_zero 0
	.end_amdhsa_kernel
	.section	.text._Z6kernelI6reduceILN6hipcub20BlockReduceAlgorithmE1EEiLj64ELj1ELj100EEvPKT0_PS4_,"axG",@progbits,_Z6kernelI6reduceILN6hipcub20BlockReduceAlgorithmE1EEiLj64ELj1ELj100EEvPKT0_PS4_,comdat
.Lfunc_end70:
	.size	_Z6kernelI6reduceILN6hipcub20BlockReduceAlgorithmE1EEiLj64ELj1ELj100EEvPKT0_PS4_, .Lfunc_end70-_Z6kernelI6reduceILN6hipcub20BlockReduceAlgorithmE1EEiLj64ELj1ELj100EEvPKT0_PS4_
                                        ; -- End function
	.section	.AMDGPU.csdata,"",@progbits
; Kernel info:
; codeLenInByte = 312
; NumSgprs: 18
; NumVgprs: 7
; ScratchSize: 0
; MemoryBound: 0
; FloatMode: 240
; IeeeMode: 1
; LDSByteSize: 256 bytes/workgroup (compile time only)
; SGPRBlocks: 2
; VGPRBlocks: 0
; NumSGPRsForWavesPerEU: 18
; NumVGPRsForWavesPerEU: 7
; Occupancy: 16
; WaveLimiterHint : 0
; COMPUTE_PGM_RSRC2:SCRATCH_EN: 0
; COMPUTE_PGM_RSRC2:USER_SGPR: 15
; COMPUTE_PGM_RSRC2:TRAP_HANDLER: 0
; COMPUTE_PGM_RSRC2:TGID_X_EN: 1
; COMPUTE_PGM_RSRC2:TGID_Y_EN: 0
; COMPUTE_PGM_RSRC2:TGID_Z_EN: 0
; COMPUTE_PGM_RSRC2:TIDIG_COMP_CNT: 0
	.section	.text._Z6kernelI6reduceILN6hipcub20BlockReduceAlgorithmE1EEiLj64ELj2ELj100EEvPKT0_PS4_,"axG",@progbits,_Z6kernelI6reduceILN6hipcub20BlockReduceAlgorithmE1EEiLj64ELj2ELj100EEvPKT0_PS4_,comdat
	.protected	_Z6kernelI6reduceILN6hipcub20BlockReduceAlgorithmE1EEiLj64ELj2ELj100EEvPKT0_PS4_ ; -- Begin function _Z6kernelI6reduceILN6hipcub20BlockReduceAlgorithmE1EEiLj64ELj2ELj100EEvPKT0_PS4_
	.globl	_Z6kernelI6reduceILN6hipcub20BlockReduceAlgorithmE1EEiLj64ELj2ELj100EEvPKT0_PS4_
	.p2align	8
	.type	_Z6kernelI6reduceILN6hipcub20BlockReduceAlgorithmE1EEiLj64ELj2ELj100EEvPKT0_PS4_,@function
_Z6kernelI6reduceILN6hipcub20BlockReduceAlgorithmE1EEiLj64ELj2ELj100EEvPKT0_PS4_: ; @_Z6kernelI6reduceILN6hipcub20BlockReduceAlgorithmE1EEiLj64ELj2ELj100EEvPKT0_PS4_
; %bb.0:
	s_clause 0x1
	s_load_b32 s5, s[0:1], 0x1c
	s_load_b128 s[0:3], s[0:1], 0x0
	v_dual_mov_b32 v2, 0 :: v_dual_lshlrev_b32 v3, 2, v0
	v_mov_b32_e32 v4, 0x7c
	s_mov_b32 s4, s15
	s_delay_alu instid0(VALU_DEP_2) | instskip(SKIP_2) | instid1(SALU_CYCLE_1)
	v_add_nc_u32_e32 v5, v3, v3
	s_waitcnt lgkmcnt(0)
	s_and_b32 s5, s5, 0xffff
	s_mul_i32 s5, s15, s5
	s_delay_alu instid0(SALU_CYCLE_1) | instskip(NEXT) | instid1(VALU_DEP_1)
	v_add_lshl_u32 v1, s5, v0, 1
	v_lshlrev_b64 v[1:2], 2, v[1:2]
	s_delay_alu instid0(VALU_DEP_1) | instskip(NEXT) | instid1(VALU_DEP_2)
	v_add_co_u32 v1, vcc_lo, s0, v1
	v_add_co_ci_u32_e32 v2, vcc_lo, s1, v2, vcc_lo
	s_movk_i32 s0, 0x64
	global_load_b64 v[1:2], v[1:2], off
	.p2align	6
.LBB71_1:                               ; =>This Inner Loop Header: Depth=1
	s_waitcnt vmcnt(0) lgkmcnt(0)
	v_add_nc_u32_e32 v1, v2, v1
	s_add_i32 s0, s0, -1
	s_delay_alu instid0(SALU_CYCLE_1)
	s_cmp_eq_u32 s0, 0
	ds_store_b32 v3, v1
	s_waitcnt lgkmcnt(0)
	s_barrier
	buffer_gl0_inv
	ds_load_b64 v[6:7], v5
	s_waitcnt lgkmcnt(0)
	v_add_nc_u32_e32 v1, v7, v6
	s_delay_alu instid0(VALU_DEP_1) | instskip(NEXT) | instid1(VALU_DEP_1)
	v_mov_b32_dpp v6, v1 quad_perm:[1,0,3,2] row_mask:0xf bank_mask:0xf
	v_add_nc_u32_e32 v1, v6, v1
	s_delay_alu instid0(VALU_DEP_1) | instskip(NEXT) | instid1(VALU_DEP_1)
	v_mov_b32_dpp v6, v1 quad_perm:[2,3,0,1] row_mask:0xf bank_mask:0xf
	v_add_nc_u32_e32 v1, v1, v6
	s_delay_alu instid0(VALU_DEP_1) | instskip(NEXT) | instid1(VALU_DEP_1)
	v_mov_b32_dpp v6, v1 row_ror:4 row_mask:0xf bank_mask:0xf
	v_add_nc_u32_e32 v1, v1, v6
	s_delay_alu instid0(VALU_DEP_1) | instskip(NEXT) | instid1(VALU_DEP_1)
	v_mov_b32_dpp v6, v1 row_ror:8 row_mask:0xf bank_mask:0xf
	v_add_nc_u32_e32 v1, v1, v6
	ds_swizzle_b32 v6, v1 offset:swizzle(BROADCAST,32,15)
	s_waitcnt lgkmcnt(0)
	v_add_nc_u32_e32 v1, v1, v6
	ds_bpermute_b32 v1, v4, v1
	s_cbranch_scc0 .LBB71_1
; %bb.2:
	s_mov_b32 s5, 0
	s_mov_b32 s0, exec_lo
	v_cmpx_eq_u32_e32 0, v0
	s_cbranch_execz .LBB71_4
; %bb.3:
	s_lshl_b64 s[0:1], s[4:5], 2
	v_mov_b32_e32 v0, 0
	s_add_u32 s0, s2, s0
	s_addc_u32 s1, s3, s1
	s_waitcnt lgkmcnt(0)
	global_store_b32 v0, v1, s[0:1]
.LBB71_4:
	s_nop 0
	s_sendmsg sendmsg(MSG_DEALLOC_VGPRS)
	s_endpgm
	.section	.rodata,"a",@progbits
	.p2align	6, 0x0
	.amdhsa_kernel _Z6kernelI6reduceILN6hipcub20BlockReduceAlgorithmE1EEiLj64ELj2ELj100EEvPKT0_PS4_
		.amdhsa_group_segment_fixed_size 256
		.amdhsa_private_segment_fixed_size 0
		.amdhsa_kernarg_size 272
		.amdhsa_user_sgpr_count 15
		.amdhsa_user_sgpr_dispatch_ptr 0
		.amdhsa_user_sgpr_queue_ptr 0
		.amdhsa_user_sgpr_kernarg_segment_ptr 1
		.amdhsa_user_sgpr_dispatch_id 0
		.amdhsa_user_sgpr_private_segment_size 0
		.amdhsa_wavefront_size32 1
		.amdhsa_uses_dynamic_stack 0
		.amdhsa_enable_private_segment 0
		.amdhsa_system_sgpr_workgroup_id_x 1
		.amdhsa_system_sgpr_workgroup_id_y 0
		.amdhsa_system_sgpr_workgroup_id_z 0
		.amdhsa_system_sgpr_workgroup_info 0
		.amdhsa_system_vgpr_workitem_id 0
		.amdhsa_next_free_vgpr 8
		.amdhsa_next_free_sgpr 16
		.amdhsa_reserve_vcc 1
		.amdhsa_float_round_mode_32 0
		.amdhsa_float_round_mode_16_64 0
		.amdhsa_float_denorm_mode_32 3
		.amdhsa_float_denorm_mode_16_64 3
		.amdhsa_dx10_clamp 1
		.amdhsa_ieee_mode 1
		.amdhsa_fp16_overflow 0
		.amdhsa_workgroup_processor_mode 1
		.amdhsa_memory_ordered 1
		.amdhsa_forward_progress 0
		.amdhsa_shared_vgpr_count 0
		.amdhsa_exception_fp_ieee_invalid_op 0
		.amdhsa_exception_fp_denorm_src 0
		.amdhsa_exception_fp_ieee_div_zero 0
		.amdhsa_exception_fp_ieee_overflow 0
		.amdhsa_exception_fp_ieee_underflow 0
		.amdhsa_exception_fp_ieee_inexact 0
		.amdhsa_exception_int_div_zero 0
	.end_amdhsa_kernel
	.section	.text._Z6kernelI6reduceILN6hipcub20BlockReduceAlgorithmE1EEiLj64ELj2ELj100EEvPKT0_PS4_,"axG",@progbits,_Z6kernelI6reduceILN6hipcub20BlockReduceAlgorithmE1EEiLj64ELj2ELj100EEvPKT0_PS4_,comdat
.Lfunc_end71:
	.size	_Z6kernelI6reduceILN6hipcub20BlockReduceAlgorithmE1EEiLj64ELj2ELj100EEvPKT0_PS4_, .Lfunc_end71-_Z6kernelI6reduceILN6hipcub20BlockReduceAlgorithmE1EEiLj64ELj2ELj100EEvPKT0_PS4_
                                        ; -- End function
	.section	.AMDGPU.csdata,"",@progbits
; Kernel info:
; codeLenInByte = 320
; NumSgprs: 18
; NumVgprs: 8
; ScratchSize: 0
; MemoryBound: 0
; FloatMode: 240
; IeeeMode: 1
; LDSByteSize: 256 bytes/workgroup (compile time only)
; SGPRBlocks: 2
; VGPRBlocks: 0
; NumSGPRsForWavesPerEU: 18
; NumVGPRsForWavesPerEU: 8
; Occupancy: 16
; WaveLimiterHint : 0
; COMPUTE_PGM_RSRC2:SCRATCH_EN: 0
; COMPUTE_PGM_RSRC2:USER_SGPR: 15
; COMPUTE_PGM_RSRC2:TRAP_HANDLER: 0
; COMPUTE_PGM_RSRC2:TGID_X_EN: 1
; COMPUTE_PGM_RSRC2:TGID_Y_EN: 0
; COMPUTE_PGM_RSRC2:TGID_Z_EN: 0
; COMPUTE_PGM_RSRC2:TIDIG_COMP_CNT: 0
	.section	.text._Z6kernelI6reduceILN6hipcub20BlockReduceAlgorithmE1EEiLj64ELj3ELj100EEvPKT0_PS4_,"axG",@progbits,_Z6kernelI6reduceILN6hipcub20BlockReduceAlgorithmE1EEiLj64ELj3ELj100EEvPKT0_PS4_,comdat
	.protected	_Z6kernelI6reduceILN6hipcub20BlockReduceAlgorithmE1EEiLj64ELj3ELj100EEvPKT0_PS4_ ; -- Begin function _Z6kernelI6reduceILN6hipcub20BlockReduceAlgorithmE1EEiLj64ELj3ELj100EEvPKT0_PS4_
	.globl	_Z6kernelI6reduceILN6hipcub20BlockReduceAlgorithmE1EEiLj64ELj3ELj100EEvPKT0_PS4_
	.p2align	8
	.type	_Z6kernelI6reduceILN6hipcub20BlockReduceAlgorithmE1EEiLj64ELj3ELj100EEvPKT0_PS4_,@function
_Z6kernelI6reduceILN6hipcub20BlockReduceAlgorithmE1EEiLj64ELj3ELj100EEvPKT0_PS4_: ; @_Z6kernelI6reduceILN6hipcub20BlockReduceAlgorithmE1EEiLj64ELj3ELj100EEvPKT0_PS4_
; %bb.0:
	s_load_b32 s2, s[0:1], 0x1c
	s_mov_b32 s4, s15
	s_waitcnt lgkmcnt(0)
	s_and_b32 s2, s2, 0xffff
	s_delay_alu instid0(SALU_CYCLE_1) | instskip(SKIP_1) | instid1(VALU_DEP_1)
	v_mad_u64_u32 v[1:2], null, s4, s2, v[0:1]
	s_load_b128 s[0:3], s[0:1], 0x0
	v_lshl_add_u32 v1, v1, 1, v1
	s_delay_alu instid0(VALU_DEP_1) | instskip(NEXT) | instid1(VALU_DEP_1)
	v_dual_mov_b32 v2, 0 :: v_dual_add_nc_u32 v3, 1, v1
	v_mov_b32_e32 v4, v2
	v_lshlrev_b64 v[5:6], 2, v[1:2]
	v_add_nc_u32_e32 v1, 2, v1
	s_delay_alu instid0(VALU_DEP_3) | instskip(NEXT) | instid1(VALU_DEP_2)
	v_lshlrev_b64 v[3:4], 2, v[3:4]
	v_lshlrev_b64 v[1:2], 2, v[1:2]
	s_waitcnt lgkmcnt(0)
	s_delay_alu instid0(VALU_DEP_4) | instskip(SKIP_1) | instid1(VALU_DEP_4)
	v_add_co_u32 v5, vcc_lo, s0, v5
	v_add_co_ci_u32_e32 v6, vcc_lo, s1, v6, vcc_lo
	v_add_co_u32 v3, vcc_lo, s0, v3
	v_add_co_ci_u32_e32 v4, vcc_lo, s1, v4, vcc_lo
	;; [unrolled: 2-line block ×3, first 2 shown]
	s_clause 0x2
	global_load_b32 v1, v[5:6], off
	global_load_b32 v2, v[3:4], off
	;; [unrolled: 1-line block ×3, first 2 shown]
	v_dual_mov_b32 v5, 0x7c :: v_dual_lshlrev_b32 v4, 2, v0
	s_movk_i32 s0, 0x64
	s_delay_alu instid0(VALU_DEP_1)
	v_add_nc_u32_e32 v6, v4, v4
	.p2align	6
.LBB72_1:                               ; =>This Inner Loop Header: Depth=1
	s_waitcnt vmcnt(0) lgkmcnt(0)
	v_add3_u32 v1, v2, v1, v3
	s_add_i32 s0, s0, -1
	s_delay_alu instid0(SALU_CYCLE_1)
	s_cmp_eq_u32 s0, 0
	ds_store_b32 v4, v1
	s_waitcnt lgkmcnt(0)
	s_barrier
	buffer_gl0_inv
	ds_load_b64 v[7:8], v6
	s_waitcnt lgkmcnt(0)
	v_add_nc_u32_e32 v1, v8, v7
	s_delay_alu instid0(VALU_DEP_1) | instskip(NEXT) | instid1(VALU_DEP_1)
	v_mov_b32_dpp v7, v1 quad_perm:[1,0,3,2] row_mask:0xf bank_mask:0xf
	v_add_nc_u32_e32 v1, v7, v1
	s_delay_alu instid0(VALU_DEP_1) | instskip(NEXT) | instid1(VALU_DEP_1)
	v_mov_b32_dpp v7, v1 quad_perm:[2,3,0,1] row_mask:0xf bank_mask:0xf
	v_add_nc_u32_e32 v1, v1, v7
	s_delay_alu instid0(VALU_DEP_1) | instskip(NEXT) | instid1(VALU_DEP_1)
	v_mov_b32_dpp v7, v1 row_ror:4 row_mask:0xf bank_mask:0xf
	v_add_nc_u32_e32 v1, v1, v7
	s_delay_alu instid0(VALU_DEP_1) | instskip(NEXT) | instid1(VALU_DEP_1)
	v_mov_b32_dpp v7, v1 row_ror:8 row_mask:0xf bank_mask:0xf
	v_add_nc_u32_e32 v1, v1, v7
	ds_swizzle_b32 v7, v1 offset:swizzle(BROADCAST,32,15)
	s_waitcnt lgkmcnt(0)
	v_add_nc_u32_e32 v1, v1, v7
	ds_bpermute_b32 v1, v5, v1
	s_cbranch_scc0 .LBB72_1
; %bb.2:
	s_mov_b32 s5, 0
	s_mov_b32 s0, exec_lo
	v_cmpx_eq_u32_e32 0, v0
	s_cbranch_execz .LBB72_4
; %bb.3:
	s_lshl_b64 s[0:1], s[4:5], 2
	v_mov_b32_e32 v0, 0
	s_add_u32 s0, s2, s0
	s_addc_u32 s1, s3, s1
	s_waitcnt lgkmcnt(0)
	global_store_b32 v0, v1, s[0:1]
.LBB72_4:
	s_nop 0
	s_sendmsg sendmsg(MSG_DEALLOC_VGPRS)
	s_endpgm
	.section	.rodata,"a",@progbits
	.p2align	6, 0x0
	.amdhsa_kernel _Z6kernelI6reduceILN6hipcub20BlockReduceAlgorithmE1EEiLj64ELj3ELj100EEvPKT0_PS4_
		.amdhsa_group_segment_fixed_size 256
		.amdhsa_private_segment_fixed_size 0
		.amdhsa_kernarg_size 272
		.amdhsa_user_sgpr_count 15
		.amdhsa_user_sgpr_dispatch_ptr 0
		.amdhsa_user_sgpr_queue_ptr 0
		.amdhsa_user_sgpr_kernarg_segment_ptr 1
		.amdhsa_user_sgpr_dispatch_id 0
		.amdhsa_user_sgpr_private_segment_size 0
		.amdhsa_wavefront_size32 1
		.amdhsa_uses_dynamic_stack 0
		.amdhsa_enable_private_segment 0
		.amdhsa_system_sgpr_workgroup_id_x 1
		.amdhsa_system_sgpr_workgroup_id_y 0
		.amdhsa_system_sgpr_workgroup_id_z 0
		.amdhsa_system_sgpr_workgroup_info 0
		.amdhsa_system_vgpr_workitem_id 0
		.amdhsa_next_free_vgpr 9
		.amdhsa_next_free_sgpr 16
		.amdhsa_reserve_vcc 1
		.amdhsa_float_round_mode_32 0
		.amdhsa_float_round_mode_16_64 0
		.amdhsa_float_denorm_mode_32 3
		.amdhsa_float_denorm_mode_16_64 3
		.amdhsa_dx10_clamp 1
		.amdhsa_ieee_mode 1
		.amdhsa_fp16_overflow 0
		.amdhsa_workgroup_processor_mode 1
		.amdhsa_memory_ordered 1
		.amdhsa_forward_progress 0
		.amdhsa_shared_vgpr_count 0
		.amdhsa_exception_fp_ieee_invalid_op 0
		.amdhsa_exception_fp_denorm_src 0
		.amdhsa_exception_fp_ieee_div_zero 0
		.amdhsa_exception_fp_ieee_overflow 0
		.amdhsa_exception_fp_ieee_underflow 0
		.amdhsa_exception_fp_ieee_inexact 0
		.amdhsa_exception_int_div_zero 0
	.end_amdhsa_kernel
	.section	.text._Z6kernelI6reduceILN6hipcub20BlockReduceAlgorithmE1EEiLj64ELj3ELj100EEvPKT0_PS4_,"axG",@progbits,_Z6kernelI6reduceILN6hipcub20BlockReduceAlgorithmE1EEiLj64ELj3ELj100EEvPKT0_PS4_,comdat
.Lfunc_end72:
	.size	_Z6kernelI6reduceILN6hipcub20BlockReduceAlgorithmE1EEiLj64ELj3ELj100EEvPKT0_PS4_, .Lfunc_end72-_Z6kernelI6reduceILN6hipcub20BlockReduceAlgorithmE1EEiLj64ELj3ELj100EEvPKT0_PS4_
                                        ; -- End function
	.section	.AMDGPU.csdata,"",@progbits
; Kernel info:
; codeLenInByte = 408
; NumSgprs: 18
; NumVgprs: 9
; ScratchSize: 0
; MemoryBound: 0
; FloatMode: 240
; IeeeMode: 1
; LDSByteSize: 256 bytes/workgroup (compile time only)
; SGPRBlocks: 2
; VGPRBlocks: 1
; NumSGPRsForWavesPerEU: 18
; NumVGPRsForWavesPerEU: 9
; Occupancy: 16
; WaveLimiterHint : 0
; COMPUTE_PGM_RSRC2:SCRATCH_EN: 0
; COMPUTE_PGM_RSRC2:USER_SGPR: 15
; COMPUTE_PGM_RSRC2:TRAP_HANDLER: 0
; COMPUTE_PGM_RSRC2:TGID_X_EN: 1
; COMPUTE_PGM_RSRC2:TGID_Y_EN: 0
; COMPUTE_PGM_RSRC2:TGID_Z_EN: 0
; COMPUTE_PGM_RSRC2:TIDIG_COMP_CNT: 0
	.section	.text._Z6kernelI6reduceILN6hipcub20BlockReduceAlgorithmE1EEiLj64ELj4ELj100EEvPKT0_PS4_,"axG",@progbits,_Z6kernelI6reduceILN6hipcub20BlockReduceAlgorithmE1EEiLj64ELj4ELj100EEvPKT0_PS4_,comdat
	.protected	_Z6kernelI6reduceILN6hipcub20BlockReduceAlgorithmE1EEiLj64ELj4ELj100EEvPKT0_PS4_ ; -- Begin function _Z6kernelI6reduceILN6hipcub20BlockReduceAlgorithmE1EEiLj64ELj4ELj100EEvPKT0_PS4_
	.globl	_Z6kernelI6reduceILN6hipcub20BlockReduceAlgorithmE1EEiLj64ELj4ELj100EEvPKT0_PS4_
	.p2align	8
	.type	_Z6kernelI6reduceILN6hipcub20BlockReduceAlgorithmE1EEiLj64ELj4ELj100EEvPKT0_PS4_,@function
_Z6kernelI6reduceILN6hipcub20BlockReduceAlgorithmE1EEiLj64ELj4ELj100EEvPKT0_PS4_: ; @_Z6kernelI6reduceILN6hipcub20BlockReduceAlgorithmE1EEiLj64ELj4ELj100EEvPKT0_PS4_
; %bb.0:
	s_clause 0x1
	s_load_b32 s5, s[0:1], 0x1c
	s_load_b128 s[0:3], s[0:1], 0x0
	v_dual_mov_b32 v2, 0 :: v_dual_lshlrev_b32 v5, 2, v0
	v_mov_b32_e32 v6, 0x7c
	s_mov_b32 s4, s15
	s_delay_alu instid0(VALU_DEP_2) | instskip(SKIP_2) | instid1(SALU_CYCLE_1)
	v_add_nc_u32_e32 v7, v5, v5
	s_waitcnt lgkmcnt(0)
	s_and_b32 s5, s5, 0xffff
	s_mul_i32 s5, s15, s5
	s_delay_alu instid0(SALU_CYCLE_1) | instskip(NEXT) | instid1(VALU_DEP_1)
	v_add_lshl_u32 v1, s5, v0, 2
	v_lshlrev_b64 v[1:2], 2, v[1:2]
	s_delay_alu instid0(VALU_DEP_1) | instskip(NEXT) | instid1(VALU_DEP_2)
	v_add_co_u32 v1, vcc_lo, s0, v1
	v_add_co_ci_u32_e32 v2, vcc_lo, s1, v2, vcc_lo
	s_movk_i32 s0, 0x64
	global_load_b128 v[1:4], v[1:2], off
	.p2align	6
.LBB73_1:                               ; =>This Inner Loop Header: Depth=1
	s_waitcnt vmcnt(0) lgkmcnt(0)
	v_add_nc_u32_e32 v1, v2, v1
	s_add_i32 s0, s0, -1
	s_delay_alu instid0(SALU_CYCLE_1) | instskip(NEXT) | instid1(VALU_DEP_1)
	s_cmp_eq_u32 s0, 0
	v_add3_u32 v1, v1, v3, v4
	ds_store_b32 v5, v1
	s_waitcnt lgkmcnt(0)
	s_barrier
	buffer_gl0_inv
	ds_load_b64 v[8:9], v7
	s_waitcnt lgkmcnt(0)
	v_add_nc_u32_e32 v1, v9, v8
	s_delay_alu instid0(VALU_DEP_1) | instskip(NEXT) | instid1(VALU_DEP_1)
	v_mov_b32_dpp v8, v1 quad_perm:[1,0,3,2] row_mask:0xf bank_mask:0xf
	v_add_nc_u32_e32 v1, v8, v1
	s_delay_alu instid0(VALU_DEP_1) | instskip(NEXT) | instid1(VALU_DEP_1)
	v_mov_b32_dpp v8, v1 quad_perm:[2,3,0,1] row_mask:0xf bank_mask:0xf
	v_add_nc_u32_e32 v1, v1, v8
	s_delay_alu instid0(VALU_DEP_1) | instskip(NEXT) | instid1(VALU_DEP_1)
	v_mov_b32_dpp v8, v1 row_ror:4 row_mask:0xf bank_mask:0xf
	v_add_nc_u32_e32 v1, v1, v8
	s_delay_alu instid0(VALU_DEP_1) | instskip(NEXT) | instid1(VALU_DEP_1)
	v_mov_b32_dpp v8, v1 row_ror:8 row_mask:0xf bank_mask:0xf
	v_add_nc_u32_e32 v1, v1, v8
	ds_swizzle_b32 v8, v1 offset:swizzle(BROADCAST,32,15)
	s_waitcnt lgkmcnt(0)
	v_add_nc_u32_e32 v1, v1, v8
	ds_bpermute_b32 v1, v6, v1
	s_cbranch_scc0 .LBB73_1
; %bb.2:
	s_mov_b32 s5, 0
	s_mov_b32 s0, exec_lo
	v_cmpx_eq_u32_e32 0, v0
	s_cbranch_execz .LBB73_4
; %bb.3:
	s_lshl_b64 s[0:1], s[4:5], 2
	v_mov_b32_e32 v0, 0
	s_add_u32 s0, s2, s0
	s_addc_u32 s1, s3, s1
	s_waitcnt lgkmcnt(0)
	global_store_b32 v0, v1, s[0:1]
.LBB73_4:
	s_nop 0
	s_sendmsg sendmsg(MSG_DEALLOC_VGPRS)
	s_endpgm
	.section	.rodata,"a",@progbits
	.p2align	6, 0x0
	.amdhsa_kernel _Z6kernelI6reduceILN6hipcub20BlockReduceAlgorithmE1EEiLj64ELj4ELj100EEvPKT0_PS4_
		.amdhsa_group_segment_fixed_size 256
		.amdhsa_private_segment_fixed_size 0
		.amdhsa_kernarg_size 272
		.amdhsa_user_sgpr_count 15
		.amdhsa_user_sgpr_dispatch_ptr 0
		.amdhsa_user_sgpr_queue_ptr 0
		.amdhsa_user_sgpr_kernarg_segment_ptr 1
		.amdhsa_user_sgpr_dispatch_id 0
		.amdhsa_user_sgpr_private_segment_size 0
		.amdhsa_wavefront_size32 1
		.amdhsa_uses_dynamic_stack 0
		.amdhsa_enable_private_segment 0
		.amdhsa_system_sgpr_workgroup_id_x 1
		.amdhsa_system_sgpr_workgroup_id_y 0
		.amdhsa_system_sgpr_workgroup_id_z 0
		.amdhsa_system_sgpr_workgroup_info 0
		.amdhsa_system_vgpr_workitem_id 0
		.amdhsa_next_free_vgpr 10
		.amdhsa_next_free_sgpr 16
		.amdhsa_reserve_vcc 1
		.amdhsa_float_round_mode_32 0
		.amdhsa_float_round_mode_16_64 0
		.amdhsa_float_denorm_mode_32 3
		.amdhsa_float_denorm_mode_16_64 3
		.amdhsa_dx10_clamp 1
		.amdhsa_ieee_mode 1
		.amdhsa_fp16_overflow 0
		.amdhsa_workgroup_processor_mode 1
		.amdhsa_memory_ordered 1
		.amdhsa_forward_progress 0
		.amdhsa_shared_vgpr_count 0
		.amdhsa_exception_fp_ieee_invalid_op 0
		.amdhsa_exception_fp_denorm_src 0
		.amdhsa_exception_fp_ieee_div_zero 0
		.amdhsa_exception_fp_ieee_overflow 0
		.amdhsa_exception_fp_ieee_underflow 0
		.amdhsa_exception_fp_ieee_inexact 0
		.amdhsa_exception_int_div_zero 0
	.end_amdhsa_kernel
	.section	.text._Z6kernelI6reduceILN6hipcub20BlockReduceAlgorithmE1EEiLj64ELj4ELj100EEvPKT0_PS4_,"axG",@progbits,_Z6kernelI6reduceILN6hipcub20BlockReduceAlgorithmE1EEiLj64ELj4ELj100EEvPKT0_PS4_,comdat
.Lfunc_end73:
	.size	_Z6kernelI6reduceILN6hipcub20BlockReduceAlgorithmE1EEiLj64ELj4ELj100EEvPKT0_PS4_, .Lfunc_end73-_Z6kernelI6reduceILN6hipcub20BlockReduceAlgorithmE1EEiLj64ELj4ELj100EEvPKT0_PS4_
                                        ; -- End function
	.section	.AMDGPU.csdata,"",@progbits
; Kernel info:
; codeLenInByte = 328
; NumSgprs: 18
; NumVgprs: 10
; ScratchSize: 0
; MemoryBound: 0
; FloatMode: 240
; IeeeMode: 1
; LDSByteSize: 256 bytes/workgroup (compile time only)
; SGPRBlocks: 2
; VGPRBlocks: 1
; NumSGPRsForWavesPerEU: 18
; NumVGPRsForWavesPerEU: 10
; Occupancy: 16
; WaveLimiterHint : 0
; COMPUTE_PGM_RSRC2:SCRATCH_EN: 0
; COMPUTE_PGM_RSRC2:USER_SGPR: 15
; COMPUTE_PGM_RSRC2:TRAP_HANDLER: 0
; COMPUTE_PGM_RSRC2:TGID_X_EN: 1
; COMPUTE_PGM_RSRC2:TGID_Y_EN: 0
; COMPUTE_PGM_RSRC2:TGID_Z_EN: 0
; COMPUTE_PGM_RSRC2:TIDIG_COMP_CNT: 0
	.section	.text._Z6kernelI6reduceILN6hipcub20BlockReduceAlgorithmE1EEiLj64ELj8ELj100EEvPKT0_PS4_,"axG",@progbits,_Z6kernelI6reduceILN6hipcub20BlockReduceAlgorithmE1EEiLj64ELj8ELj100EEvPKT0_PS4_,comdat
	.protected	_Z6kernelI6reduceILN6hipcub20BlockReduceAlgorithmE1EEiLj64ELj8ELj100EEvPKT0_PS4_ ; -- Begin function _Z6kernelI6reduceILN6hipcub20BlockReduceAlgorithmE1EEiLj64ELj8ELj100EEvPKT0_PS4_
	.globl	_Z6kernelI6reduceILN6hipcub20BlockReduceAlgorithmE1EEiLj64ELj8ELj100EEvPKT0_PS4_
	.p2align	8
	.type	_Z6kernelI6reduceILN6hipcub20BlockReduceAlgorithmE1EEiLj64ELj8ELj100EEvPKT0_PS4_,@function
_Z6kernelI6reduceILN6hipcub20BlockReduceAlgorithmE1EEiLj64ELj8ELj100EEvPKT0_PS4_: ; @_Z6kernelI6reduceILN6hipcub20BlockReduceAlgorithmE1EEiLj64ELj8ELj100EEvPKT0_PS4_
; %bb.0:
	s_clause 0x1
	s_load_b32 s5, s[0:1], 0x1c
	s_load_b128 s[0:3], s[0:1], 0x0
	v_dual_mov_b32 v2, 0 :: v_dual_lshlrev_b32 v9, 2, v0
	v_mov_b32_e32 v10, 0x7c
	s_mov_b32 s4, s15
	s_delay_alu instid0(VALU_DEP_2) | instskip(SKIP_2) | instid1(SALU_CYCLE_1)
	v_add_nc_u32_e32 v11, v9, v9
	s_waitcnt lgkmcnt(0)
	s_and_b32 s5, s5, 0xffff
	s_mul_i32 s5, s15, s5
	s_delay_alu instid0(SALU_CYCLE_1) | instskip(NEXT) | instid1(VALU_DEP_1)
	v_add_lshl_u32 v1, s5, v0, 3
	v_lshlrev_b64 v[1:2], 2, v[1:2]
	s_delay_alu instid0(VALU_DEP_1) | instskip(NEXT) | instid1(VALU_DEP_2)
	v_add_co_u32 v5, vcc_lo, s0, v1
	v_add_co_ci_u32_e32 v6, vcc_lo, s1, v2, vcc_lo
	s_movk_i32 s0, 0x64
	s_clause 0x1
	global_load_b128 v[1:4], v[5:6], off
	global_load_b128 v[5:8], v[5:6], off offset:16
	s_set_inst_prefetch_distance 0x1
	.p2align	6
.LBB74_1:                               ; =>This Inner Loop Header: Depth=1
	s_waitcnt vmcnt(1) lgkmcnt(0)
	v_add_nc_u32_e32 v1, v2, v1
	s_add_i32 s0, s0, -1
	s_delay_alu instid0(SALU_CYCLE_1) | instskip(NEXT) | instid1(VALU_DEP_1)
	s_cmp_eq_u32 s0, 0
	v_add3_u32 v1, v1, v3, v4
	s_waitcnt vmcnt(0)
	s_delay_alu instid0(VALU_DEP_1) | instskip(NEXT) | instid1(VALU_DEP_1)
	v_add3_u32 v1, v1, v5, v6
	v_add3_u32 v1, v1, v7, v8
	ds_store_b32 v9, v1
	s_waitcnt lgkmcnt(0)
	s_barrier
	buffer_gl0_inv
	ds_load_b64 v[12:13], v11
	s_waitcnt lgkmcnt(0)
	v_add_nc_u32_e32 v1, v13, v12
	s_delay_alu instid0(VALU_DEP_1) | instskip(NEXT) | instid1(VALU_DEP_1)
	v_mov_b32_dpp v12, v1 quad_perm:[1,0,3,2] row_mask:0xf bank_mask:0xf
	v_add_nc_u32_e32 v1, v12, v1
	s_delay_alu instid0(VALU_DEP_1) | instskip(NEXT) | instid1(VALU_DEP_1)
	v_mov_b32_dpp v12, v1 quad_perm:[2,3,0,1] row_mask:0xf bank_mask:0xf
	v_add_nc_u32_e32 v1, v1, v12
	s_delay_alu instid0(VALU_DEP_1) | instskip(NEXT) | instid1(VALU_DEP_1)
	v_mov_b32_dpp v12, v1 row_ror:4 row_mask:0xf bank_mask:0xf
	v_add_nc_u32_e32 v1, v1, v12
	s_delay_alu instid0(VALU_DEP_1) | instskip(NEXT) | instid1(VALU_DEP_1)
	v_mov_b32_dpp v12, v1 row_ror:8 row_mask:0xf bank_mask:0xf
	v_add_nc_u32_e32 v1, v1, v12
	ds_swizzle_b32 v12, v1 offset:swizzle(BROADCAST,32,15)
	s_waitcnt lgkmcnt(0)
	v_add_nc_u32_e32 v1, v1, v12
	ds_bpermute_b32 v1, v10, v1
	s_cbranch_scc0 .LBB74_1
; %bb.2:
	s_set_inst_prefetch_distance 0x2
	s_mov_b32 s5, 0
	s_mov_b32 s0, exec_lo
	v_cmpx_eq_u32_e32 0, v0
	s_cbranch_execz .LBB74_4
; %bb.3:
	s_lshl_b64 s[0:1], s[4:5], 2
	v_mov_b32_e32 v0, 0
	s_add_u32 s0, s2, s0
	s_addc_u32 s1, s3, s1
	s_waitcnt lgkmcnt(0)
	global_store_b32 v0, v1, s[0:1]
.LBB74_4:
	s_nop 0
	s_sendmsg sendmsg(MSG_DEALLOC_VGPRS)
	s_endpgm
	.section	.rodata,"a",@progbits
	.p2align	6, 0x0
	.amdhsa_kernel _Z6kernelI6reduceILN6hipcub20BlockReduceAlgorithmE1EEiLj64ELj8ELj100EEvPKT0_PS4_
		.amdhsa_group_segment_fixed_size 256
		.amdhsa_private_segment_fixed_size 0
		.amdhsa_kernarg_size 272
		.amdhsa_user_sgpr_count 15
		.amdhsa_user_sgpr_dispatch_ptr 0
		.amdhsa_user_sgpr_queue_ptr 0
		.amdhsa_user_sgpr_kernarg_segment_ptr 1
		.amdhsa_user_sgpr_dispatch_id 0
		.amdhsa_user_sgpr_private_segment_size 0
		.amdhsa_wavefront_size32 1
		.amdhsa_uses_dynamic_stack 0
		.amdhsa_enable_private_segment 0
		.amdhsa_system_sgpr_workgroup_id_x 1
		.amdhsa_system_sgpr_workgroup_id_y 0
		.amdhsa_system_sgpr_workgroup_id_z 0
		.amdhsa_system_sgpr_workgroup_info 0
		.amdhsa_system_vgpr_workitem_id 0
		.amdhsa_next_free_vgpr 14
		.amdhsa_next_free_sgpr 16
		.amdhsa_reserve_vcc 1
		.amdhsa_float_round_mode_32 0
		.amdhsa_float_round_mode_16_64 0
		.amdhsa_float_denorm_mode_32 3
		.amdhsa_float_denorm_mode_16_64 3
		.amdhsa_dx10_clamp 1
		.amdhsa_ieee_mode 1
		.amdhsa_fp16_overflow 0
		.amdhsa_workgroup_processor_mode 1
		.amdhsa_memory_ordered 1
		.amdhsa_forward_progress 0
		.amdhsa_shared_vgpr_count 0
		.amdhsa_exception_fp_ieee_invalid_op 0
		.amdhsa_exception_fp_denorm_src 0
		.amdhsa_exception_fp_ieee_div_zero 0
		.amdhsa_exception_fp_ieee_overflow 0
		.amdhsa_exception_fp_ieee_underflow 0
		.amdhsa_exception_fp_ieee_inexact 0
		.amdhsa_exception_int_div_zero 0
	.end_amdhsa_kernel
	.section	.text._Z6kernelI6reduceILN6hipcub20BlockReduceAlgorithmE1EEiLj64ELj8ELj100EEvPKT0_PS4_,"axG",@progbits,_Z6kernelI6reduceILN6hipcub20BlockReduceAlgorithmE1EEiLj64ELj8ELj100EEvPKT0_PS4_,comdat
.Lfunc_end74:
	.size	_Z6kernelI6reduceILN6hipcub20BlockReduceAlgorithmE1EEiLj64ELj8ELj100EEvPKT0_PS4_, .Lfunc_end74-_Z6kernelI6reduceILN6hipcub20BlockReduceAlgorithmE1EEiLj64ELj8ELj100EEvPKT0_PS4_
                                        ; -- End function
	.section	.AMDGPU.csdata,"",@progbits
; Kernel info:
; codeLenInByte = 372
; NumSgprs: 18
; NumVgprs: 14
; ScratchSize: 0
; MemoryBound: 0
; FloatMode: 240
; IeeeMode: 1
; LDSByteSize: 256 bytes/workgroup (compile time only)
; SGPRBlocks: 2
; VGPRBlocks: 1
; NumSGPRsForWavesPerEU: 18
; NumVGPRsForWavesPerEU: 14
; Occupancy: 16
; WaveLimiterHint : 0
; COMPUTE_PGM_RSRC2:SCRATCH_EN: 0
; COMPUTE_PGM_RSRC2:USER_SGPR: 15
; COMPUTE_PGM_RSRC2:TRAP_HANDLER: 0
; COMPUTE_PGM_RSRC2:TGID_X_EN: 1
; COMPUTE_PGM_RSRC2:TGID_Y_EN: 0
; COMPUTE_PGM_RSRC2:TGID_Z_EN: 0
; COMPUTE_PGM_RSRC2:TIDIG_COMP_CNT: 0
	.section	.text._Z6kernelI6reduceILN6hipcub20BlockReduceAlgorithmE1EEiLj64ELj11ELj100EEvPKT0_PS4_,"axG",@progbits,_Z6kernelI6reduceILN6hipcub20BlockReduceAlgorithmE1EEiLj64ELj11ELj100EEvPKT0_PS4_,comdat
	.protected	_Z6kernelI6reduceILN6hipcub20BlockReduceAlgorithmE1EEiLj64ELj11ELj100EEvPKT0_PS4_ ; -- Begin function _Z6kernelI6reduceILN6hipcub20BlockReduceAlgorithmE1EEiLj64ELj11ELj100EEvPKT0_PS4_
	.globl	_Z6kernelI6reduceILN6hipcub20BlockReduceAlgorithmE1EEiLj64ELj11ELj100EEvPKT0_PS4_
	.p2align	8
	.type	_Z6kernelI6reduceILN6hipcub20BlockReduceAlgorithmE1EEiLj64ELj11ELj100EEvPKT0_PS4_,@function
_Z6kernelI6reduceILN6hipcub20BlockReduceAlgorithmE1EEiLj64ELj11ELj100EEvPKT0_PS4_: ; @_Z6kernelI6reduceILN6hipcub20BlockReduceAlgorithmE1EEiLj64ELj11ELj100EEvPKT0_PS4_
; %bb.0:
	s_load_b32 s2, s[0:1], 0x1c
	s_mov_b32 s4, s15
	s_waitcnt lgkmcnt(0)
	s_and_b32 s2, s2, 0xffff
	s_delay_alu instid0(SALU_CYCLE_1) | instskip(SKIP_1) | instid1(VALU_DEP_1)
	v_mad_u64_u32 v[1:2], null, s4, s2, v[0:1]
	s_load_b128 s[0:3], s[0:1], 0x0
	v_mul_lo_u32 v1, v1, 11
	s_delay_alu instid0(VALU_DEP_1) | instskip(NEXT) | instid1(VALU_DEP_1)
	v_dual_mov_b32 v2, 0 :: v_dual_add_nc_u32 v3, 1, v1
	v_dual_mov_b32 v4, v2 :: v_dual_add_nc_u32 v5, 2, v1
	;; [unrolled: 1-line block ×4, first 2 shown]
	s_delay_alu instid0(VALU_DEP_3) | instskip(NEXT) | instid1(VALU_DEP_3)
	v_lshlrev_b64 v[3:4], 2, v[3:4]
	v_lshlrev_b64 v[5:6], 2, v[5:6]
	v_dual_mov_b32 v10, v2 :: v_dual_add_nc_u32 v11, 5, v1
	s_delay_alu instid0(VALU_DEP_4)
	v_lshlrev_b64 v[7:8], 2, v[7:8]
	v_dual_mov_b32 v12, v2 :: v_dual_add_nc_u32 v13, 6, v1
	s_waitcnt lgkmcnt(0)
	v_add_co_u32 v3, vcc_lo, s0, v3
	v_add_co_ci_u32_e32 v4, vcc_lo, s1, v4, vcc_lo
	v_lshlrev_b64 v[9:10], 2, v[9:10]
	v_add_co_u32 v5, vcc_lo, s0, v5
	v_dual_mov_b32 v14, v2 :: v_dual_add_nc_u32 v15, 7, v1
	v_add_co_ci_u32_e32 v6, vcc_lo, s1, v6, vcc_lo
	v_lshlrev_b64 v[11:12], 2, v[11:12]
	v_add_co_u32 v7, vcc_lo, s0, v7
	v_add_co_ci_u32_e32 v8, vcc_lo, s1, v8, vcc_lo
	v_lshlrev_b64 v[13:14], 2, v[13:14]
	v_add_co_u32 v9, vcc_lo, s0, v9
	v_dual_mov_b32 v16, v2 :: v_dual_add_nc_u32 v19, 8, v1
	v_add_co_ci_u32_e32 v10, vcc_lo, s1, v10, vcc_lo
	v_add_co_u32 v11, vcc_lo, s0, v11
	v_add_co_ci_u32_e32 v12, vcc_lo, s1, v12, vcc_lo
	v_mov_b32_e32 v20, v2
	v_add_co_u32 v13, vcc_lo, s0, v13
	v_lshlrev_b64 v[15:16], 2, v[15:16]
	v_add_co_ci_u32_e32 v14, vcc_lo, s1, v14, vcc_lo
	s_clause 0x5
	global_load_b32 v21, v[3:4], off
	global_load_b32 v22, v[5:6], off
	;; [unrolled: 1-line block ×6, first 2 shown]
	v_dual_mov_b32 v6, v2 :: v_dual_add_nc_u32 v5, 9, v1
	v_lshlrev_b64 v[3:4], 2, v[19:20]
	v_lshlrev_b64 v[17:18], 2, v[1:2]
	v_add_nc_u32_e32 v1, 10, v1
	v_add_co_u32 v7, vcc_lo, s0, v15
	v_lshlrev_b64 v[5:6], 2, v[5:6]
	v_add_co_ci_u32_e32 v8, vcc_lo, s1, v16, vcc_lo
	v_add_co_u32 v3, vcc_lo, s0, v3
	v_lshlrev_b64 v[1:2], 2, v[1:2]
	v_add_co_ci_u32_e32 v4, vcc_lo, s1, v4, vcc_lo
	v_add_co_u32 v5, vcc_lo, s0, v5
	v_add_co_ci_u32_e32 v6, vcc_lo, s1, v6, vcc_lo
	s_delay_alu instid0(VALU_DEP_4)
	v_add_co_u32 v1, vcc_lo, s0, v1
	v_add_co_ci_u32_e32 v2, vcc_lo, s1, v2, vcc_lo
	s_clause 0x3
	global_load_b32 v7, v[7:8], off
	global_load_b32 v3, v[3:4], off
	global_load_b32 v4, v[5:6], off
	global_load_b32 v5, v[1:2], off
	v_add_co_u32 v1, vcc_lo, s0, v17
	v_add_co_ci_u32_e32 v2, vcc_lo, s1, v18, vcc_lo
	s_movk_i32 s0, 0x64
	global_load_b32 v1, v[1:2], off
	s_waitcnt vmcnt(9)
	v_add_nc_u32_e32 v2, v22, v21
	s_waitcnt vmcnt(7)
	s_delay_alu instid0(VALU_DEP_1) | instskip(SKIP_1) | instid1(VALU_DEP_1)
	v_add3_u32 v2, v2, v23, v9
	s_waitcnt vmcnt(5)
	v_add3_u32 v2, v2, v10, v11
	s_waitcnt vmcnt(3)
	s_delay_alu instid0(VALU_DEP_1) | instskip(SKIP_2) | instid1(VALU_DEP_2)
	v_add3_u32 v6, v2, v7, v3
	v_dual_mov_b32 v3, 0x7c :: v_dual_lshlrev_b32 v2, 2, v0
	s_waitcnt vmcnt(1)
	v_add3_u32 v4, v6, v4, v5
	s_delay_alu instid0(VALU_DEP_2)
	v_add_nc_u32_e32 v5, v2, v2
	.p2align	6
.LBB75_1:                               ; =>This Inner Loop Header: Depth=1
	s_waitcnt vmcnt(0) lgkmcnt(0)
	s_delay_alu instid0(VALU_DEP_2) | instskip(SKIP_1) | instid1(SALU_CYCLE_1)
	v_add_nc_u32_e32 v1, v4, v1
	s_add_i32 s0, s0, -1
	s_cmp_eq_u32 s0, 0
	ds_store_b32 v2, v1
	s_waitcnt lgkmcnt(0)
	s_barrier
	buffer_gl0_inv
	ds_load_b64 v[6:7], v5
	s_waitcnt lgkmcnt(0)
	v_add_nc_u32_e32 v1, v7, v6
	s_delay_alu instid0(VALU_DEP_1) | instskip(NEXT) | instid1(VALU_DEP_1)
	v_mov_b32_dpp v6, v1 quad_perm:[1,0,3,2] row_mask:0xf bank_mask:0xf
	v_add_nc_u32_e32 v1, v6, v1
	s_delay_alu instid0(VALU_DEP_1) | instskip(NEXT) | instid1(VALU_DEP_1)
	v_mov_b32_dpp v6, v1 quad_perm:[2,3,0,1] row_mask:0xf bank_mask:0xf
	v_add_nc_u32_e32 v1, v1, v6
	s_delay_alu instid0(VALU_DEP_1) | instskip(NEXT) | instid1(VALU_DEP_1)
	v_mov_b32_dpp v6, v1 row_ror:4 row_mask:0xf bank_mask:0xf
	v_add_nc_u32_e32 v1, v1, v6
	s_delay_alu instid0(VALU_DEP_1) | instskip(NEXT) | instid1(VALU_DEP_1)
	v_mov_b32_dpp v6, v1 row_ror:8 row_mask:0xf bank_mask:0xf
	v_add_nc_u32_e32 v1, v1, v6
	ds_swizzle_b32 v6, v1 offset:swizzle(BROADCAST,32,15)
	s_waitcnt lgkmcnt(0)
	v_add_nc_u32_e32 v1, v1, v6
	ds_bpermute_b32 v1, v3, v1
	s_cbranch_scc0 .LBB75_1
; %bb.2:
	s_mov_b32 s5, 0
	s_mov_b32 s0, exec_lo
	v_cmpx_eq_u32_e32 0, v0
	s_cbranch_execz .LBB75_4
; %bb.3:
	s_lshl_b64 s[0:1], s[4:5], 2
	v_mov_b32_e32 v0, 0
	s_add_u32 s0, s2, s0
	s_addc_u32 s1, s3, s1
	s_waitcnt lgkmcnt(0)
	global_store_b32 v0, v1, s[0:1]
.LBB75_4:
	s_nop 0
	s_sendmsg sendmsg(MSG_DEALLOC_VGPRS)
	s_endpgm
	.section	.rodata,"a",@progbits
	.p2align	6, 0x0
	.amdhsa_kernel _Z6kernelI6reduceILN6hipcub20BlockReduceAlgorithmE1EEiLj64ELj11ELj100EEvPKT0_PS4_
		.amdhsa_group_segment_fixed_size 256
		.amdhsa_private_segment_fixed_size 0
		.amdhsa_kernarg_size 272
		.amdhsa_user_sgpr_count 15
		.amdhsa_user_sgpr_dispatch_ptr 0
		.amdhsa_user_sgpr_queue_ptr 0
		.amdhsa_user_sgpr_kernarg_segment_ptr 1
		.amdhsa_user_sgpr_dispatch_id 0
		.amdhsa_user_sgpr_private_segment_size 0
		.amdhsa_wavefront_size32 1
		.amdhsa_uses_dynamic_stack 0
		.amdhsa_enable_private_segment 0
		.amdhsa_system_sgpr_workgroup_id_x 1
		.amdhsa_system_sgpr_workgroup_id_y 0
		.amdhsa_system_sgpr_workgroup_id_z 0
		.amdhsa_system_sgpr_workgroup_info 0
		.amdhsa_system_vgpr_workitem_id 0
		.amdhsa_next_free_vgpr 24
		.amdhsa_next_free_sgpr 16
		.amdhsa_reserve_vcc 1
		.amdhsa_float_round_mode_32 0
		.amdhsa_float_round_mode_16_64 0
		.amdhsa_float_denorm_mode_32 3
		.amdhsa_float_denorm_mode_16_64 3
		.amdhsa_dx10_clamp 1
		.amdhsa_ieee_mode 1
		.amdhsa_fp16_overflow 0
		.amdhsa_workgroup_processor_mode 1
		.amdhsa_memory_ordered 1
		.amdhsa_forward_progress 0
		.amdhsa_shared_vgpr_count 0
		.amdhsa_exception_fp_ieee_invalid_op 0
		.amdhsa_exception_fp_denorm_src 0
		.amdhsa_exception_fp_ieee_div_zero 0
		.amdhsa_exception_fp_ieee_overflow 0
		.amdhsa_exception_fp_ieee_underflow 0
		.amdhsa_exception_fp_ieee_inexact 0
		.amdhsa_exception_int_div_zero 0
	.end_amdhsa_kernel
	.section	.text._Z6kernelI6reduceILN6hipcub20BlockReduceAlgorithmE1EEiLj64ELj11ELj100EEvPKT0_PS4_,"axG",@progbits,_Z6kernelI6reduceILN6hipcub20BlockReduceAlgorithmE1EEiLj64ELj11ELj100EEvPKT0_PS4_,comdat
.Lfunc_end75:
	.size	_Z6kernelI6reduceILN6hipcub20BlockReduceAlgorithmE1EEiLj64ELj11ELj100EEvPKT0_PS4_, .Lfunc_end75-_Z6kernelI6reduceILN6hipcub20BlockReduceAlgorithmE1EEiLj64ELj11ELj100EEvPKT0_PS4_
                                        ; -- End function
	.section	.AMDGPU.csdata,"",@progbits
; Kernel info:
; codeLenInByte = 764
; NumSgprs: 18
; NumVgprs: 24
; ScratchSize: 0
; MemoryBound: 0
; FloatMode: 240
; IeeeMode: 1
; LDSByteSize: 256 bytes/workgroup (compile time only)
; SGPRBlocks: 2
; VGPRBlocks: 2
; NumSGPRsForWavesPerEU: 18
; NumVGPRsForWavesPerEU: 24
; Occupancy: 16
; WaveLimiterHint : 0
; COMPUTE_PGM_RSRC2:SCRATCH_EN: 0
; COMPUTE_PGM_RSRC2:USER_SGPR: 15
; COMPUTE_PGM_RSRC2:TRAP_HANDLER: 0
; COMPUTE_PGM_RSRC2:TGID_X_EN: 1
; COMPUTE_PGM_RSRC2:TGID_Y_EN: 0
; COMPUTE_PGM_RSRC2:TGID_Z_EN: 0
; COMPUTE_PGM_RSRC2:TIDIG_COMP_CNT: 0
	.section	.text._Z6kernelI6reduceILN6hipcub20BlockReduceAlgorithmE1EEiLj64ELj16ELj100EEvPKT0_PS4_,"axG",@progbits,_Z6kernelI6reduceILN6hipcub20BlockReduceAlgorithmE1EEiLj64ELj16ELj100EEvPKT0_PS4_,comdat
	.protected	_Z6kernelI6reduceILN6hipcub20BlockReduceAlgorithmE1EEiLj64ELj16ELj100EEvPKT0_PS4_ ; -- Begin function _Z6kernelI6reduceILN6hipcub20BlockReduceAlgorithmE1EEiLj64ELj16ELj100EEvPKT0_PS4_
	.globl	_Z6kernelI6reduceILN6hipcub20BlockReduceAlgorithmE1EEiLj64ELj16ELj100EEvPKT0_PS4_
	.p2align	8
	.type	_Z6kernelI6reduceILN6hipcub20BlockReduceAlgorithmE1EEiLj64ELj16ELj100EEvPKT0_PS4_,@function
_Z6kernelI6reduceILN6hipcub20BlockReduceAlgorithmE1EEiLj64ELj16ELj100EEvPKT0_PS4_: ; @_Z6kernelI6reduceILN6hipcub20BlockReduceAlgorithmE1EEiLj64ELj16ELj100EEvPKT0_PS4_
; %bb.0:
	s_clause 0x1
	s_load_b32 s5, s[0:1], 0x1c
	s_load_b128 s[0:3], s[0:1], 0x0
	v_mov_b32_e32 v2, 0
	s_mov_b32 s4, s15
	s_waitcnt lgkmcnt(0)
	s_and_b32 s5, s5, 0xffff
	s_delay_alu instid0(SALU_CYCLE_1) | instskip(NEXT) | instid1(SALU_CYCLE_1)
	s_mul_i32 s5, s15, s5
	v_add_lshl_u32 v1, s5, v0, 4
	s_delay_alu instid0(VALU_DEP_1) | instskip(NEXT) | instid1(VALU_DEP_1)
	v_lshlrev_b64 v[1:2], 2, v[1:2]
	v_add_co_u32 v13, vcc_lo, s0, v1
	s_delay_alu instid0(VALU_DEP_2)
	v_add_co_ci_u32_e32 v14, vcc_lo, s1, v2, vcc_lo
	s_movk_i32 s0, 0x64
	s_clause 0x3
	global_load_b128 v[1:4], v[13:14], off
	global_load_b128 v[5:8], v[13:14], off offset:16
	global_load_b128 v[9:12], v[13:14], off offset:32
	;; [unrolled: 1-line block ×3, first 2 shown]
	s_waitcnt vmcnt(3)
	v_add3_u32 v2, v3, v2, v4
	v_mov_b32_e32 v3, 0x7c
	s_waitcnt vmcnt(2)
	s_delay_alu instid0(VALU_DEP_2) | instskip(NEXT) | instid1(VALU_DEP_1)
	v_add3_u32 v2, v2, v5, v6
	v_add3_u32 v2, v2, v7, v8
	s_waitcnt vmcnt(1)
	s_delay_alu instid0(VALU_DEP_1) | instskip(NEXT) | instid1(VALU_DEP_1)
	v_add3_u32 v2, v2, v9, v10
	v_add3_u32 v2, v2, v11, v12
	s_waitcnt vmcnt(0)
	s_delay_alu instid0(VALU_DEP_1) | instskip(SKIP_1) | instid1(VALU_DEP_2)
	v_add3_u32 v4, v2, v13, v14
	v_lshlrev_b32_e32 v2, 2, v0
	v_add3_u32 v4, v4, v15, v16
	s_delay_alu instid0(VALU_DEP_2)
	v_add_nc_u32_e32 v5, v2, v2
	.p2align	6
.LBB76_1:                               ; =>This Inner Loop Header: Depth=1
	s_waitcnt lgkmcnt(0)
	s_delay_alu instid0(VALU_DEP_2) | instskip(SKIP_1) | instid1(SALU_CYCLE_1)
	v_add_nc_u32_e32 v1, v4, v1
	s_add_i32 s0, s0, -1
	s_cmp_eq_u32 s0, 0
	ds_store_b32 v2, v1
	s_waitcnt lgkmcnt(0)
	s_barrier
	buffer_gl0_inv
	ds_load_b64 v[6:7], v5
	s_waitcnt lgkmcnt(0)
	v_add_nc_u32_e32 v1, v7, v6
	s_delay_alu instid0(VALU_DEP_1) | instskip(NEXT) | instid1(VALU_DEP_1)
	v_mov_b32_dpp v6, v1 quad_perm:[1,0,3,2] row_mask:0xf bank_mask:0xf
	v_add_nc_u32_e32 v1, v6, v1
	s_delay_alu instid0(VALU_DEP_1) | instskip(NEXT) | instid1(VALU_DEP_1)
	v_mov_b32_dpp v6, v1 quad_perm:[2,3,0,1] row_mask:0xf bank_mask:0xf
	v_add_nc_u32_e32 v1, v1, v6
	s_delay_alu instid0(VALU_DEP_1) | instskip(NEXT) | instid1(VALU_DEP_1)
	v_mov_b32_dpp v6, v1 row_ror:4 row_mask:0xf bank_mask:0xf
	v_add_nc_u32_e32 v1, v1, v6
	s_delay_alu instid0(VALU_DEP_1) | instskip(NEXT) | instid1(VALU_DEP_1)
	v_mov_b32_dpp v6, v1 row_ror:8 row_mask:0xf bank_mask:0xf
	v_add_nc_u32_e32 v1, v1, v6
	ds_swizzle_b32 v6, v1 offset:swizzle(BROADCAST,32,15)
	s_waitcnt lgkmcnt(0)
	v_add_nc_u32_e32 v1, v1, v6
	ds_bpermute_b32 v1, v3, v1
	s_cbranch_scc0 .LBB76_1
; %bb.2:
	s_mov_b32 s5, 0
	s_mov_b32 s0, exec_lo
	v_cmpx_eq_u32_e32 0, v0
	s_cbranch_execz .LBB76_4
; %bb.3:
	s_lshl_b64 s[0:1], s[4:5], 2
	v_mov_b32_e32 v0, 0
	s_add_u32 s0, s2, s0
	s_addc_u32 s1, s3, s1
	s_waitcnt lgkmcnt(0)
	global_store_b32 v0, v1, s[0:1]
.LBB76_4:
	s_nop 0
	s_sendmsg sendmsg(MSG_DEALLOC_VGPRS)
	s_endpgm
	.section	.rodata,"a",@progbits
	.p2align	6, 0x0
	.amdhsa_kernel _Z6kernelI6reduceILN6hipcub20BlockReduceAlgorithmE1EEiLj64ELj16ELj100EEvPKT0_PS4_
		.amdhsa_group_segment_fixed_size 256
		.amdhsa_private_segment_fixed_size 0
		.amdhsa_kernarg_size 272
		.amdhsa_user_sgpr_count 15
		.amdhsa_user_sgpr_dispatch_ptr 0
		.amdhsa_user_sgpr_queue_ptr 0
		.amdhsa_user_sgpr_kernarg_segment_ptr 1
		.amdhsa_user_sgpr_dispatch_id 0
		.amdhsa_user_sgpr_private_segment_size 0
		.amdhsa_wavefront_size32 1
		.amdhsa_uses_dynamic_stack 0
		.amdhsa_enable_private_segment 0
		.amdhsa_system_sgpr_workgroup_id_x 1
		.amdhsa_system_sgpr_workgroup_id_y 0
		.amdhsa_system_sgpr_workgroup_id_z 0
		.amdhsa_system_sgpr_workgroup_info 0
		.amdhsa_system_vgpr_workitem_id 0
		.amdhsa_next_free_vgpr 17
		.amdhsa_next_free_sgpr 16
		.amdhsa_reserve_vcc 1
		.amdhsa_float_round_mode_32 0
		.amdhsa_float_round_mode_16_64 0
		.amdhsa_float_denorm_mode_32 3
		.amdhsa_float_denorm_mode_16_64 3
		.amdhsa_dx10_clamp 1
		.amdhsa_ieee_mode 1
		.amdhsa_fp16_overflow 0
		.amdhsa_workgroup_processor_mode 1
		.amdhsa_memory_ordered 1
		.amdhsa_forward_progress 0
		.amdhsa_shared_vgpr_count 0
		.amdhsa_exception_fp_ieee_invalid_op 0
		.amdhsa_exception_fp_denorm_src 0
		.amdhsa_exception_fp_ieee_div_zero 0
		.amdhsa_exception_fp_ieee_overflow 0
		.amdhsa_exception_fp_ieee_underflow 0
		.amdhsa_exception_fp_ieee_inexact 0
		.amdhsa_exception_int_div_zero 0
	.end_amdhsa_kernel
	.section	.text._Z6kernelI6reduceILN6hipcub20BlockReduceAlgorithmE1EEiLj64ELj16ELj100EEvPKT0_PS4_,"axG",@progbits,_Z6kernelI6reduceILN6hipcub20BlockReduceAlgorithmE1EEiLj64ELj16ELj100EEvPKT0_PS4_,comdat
.Lfunc_end76:
	.size	_Z6kernelI6reduceILN6hipcub20BlockReduceAlgorithmE1EEiLj64ELj16ELj100EEvPKT0_PS4_, .Lfunc_end76-_Z6kernelI6reduceILN6hipcub20BlockReduceAlgorithmE1EEiLj64ELj16ELj100EEvPKT0_PS4_
                                        ; -- End function
	.section	.AMDGPU.csdata,"",@progbits
; Kernel info:
; codeLenInByte = 436
; NumSgprs: 18
; NumVgprs: 17
; ScratchSize: 0
; MemoryBound: 0
; FloatMode: 240
; IeeeMode: 1
; LDSByteSize: 256 bytes/workgroup (compile time only)
; SGPRBlocks: 2
; VGPRBlocks: 2
; NumSGPRsForWavesPerEU: 18
; NumVGPRsForWavesPerEU: 17
; Occupancy: 16
; WaveLimiterHint : 0
; COMPUTE_PGM_RSRC2:SCRATCH_EN: 0
; COMPUTE_PGM_RSRC2:USER_SGPR: 15
; COMPUTE_PGM_RSRC2:TRAP_HANDLER: 0
; COMPUTE_PGM_RSRC2:TGID_X_EN: 1
; COMPUTE_PGM_RSRC2:TGID_Y_EN: 0
; COMPUTE_PGM_RSRC2:TGID_Z_EN: 0
; COMPUTE_PGM_RSRC2:TIDIG_COMP_CNT: 0
	.section	.text._Z6kernelI6reduceILN6hipcub20BlockReduceAlgorithmE1EEfLj64ELj1ELj100EEvPKT0_PS4_,"axG",@progbits,_Z6kernelI6reduceILN6hipcub20BlockReduceAlgorithmE1EEfLj64ELj1ELj100EEvPKT0_PS4_,comdat
	.protected	_Z6kernelI6reduceILN6hipcub20BlockReduceAlgorithmE1EEfLj64ELj1ELj100EEvPKT0_PS4_ ; -- Begin function _Z6kernelI6reduceILN6hipcub20BlockReduceAlgorithmE1EEfLj64ELj1ELj100EEvPKT0_PS4_
	.globl	_Z6kernelI6reduceILN6hipcub20BlockReduceAlgorithmE1EEfLj64ELj1ELj100EEvPKT0_PS4_
	.p2align	8
	.type	_Z6kernelI6reduceILN6hipcub20BlockReduceAlgorithmE1EEfLj64ELj1ELj100EEvPKT0_PS4_,@function
_Z6kernelI6reduceILN6hipcub20BlockReduceAlgorithmE1EEfLj64ELj1ELj100EEvPKT0_PS4_: ; @_Z6kernelI6reduceILN6hipcub20BlockReduceAlgorithmE1EEfLj64ELj1ELj100EEvPKT0_PS4_
; %bb.0:
	s_clause 0x1
	s_load_b32 s5, s[0:1], 0x1c
	s_load_b128 s[0:3], s[0:1], 0x0
	s_mov_b32 s4, s15
	v_mov_b32_e32 v3, 0x7c
	s_waitcnt lgkmcnt(0)
	s_and_b32 s5, s5, 0xffff
	s_delay_alu instid0(SALU_CYCLE_1) | instskip(SKIP_1) | instid1(VALU_DEP_1)
	v_mad_u64_u32 v[1:2], null, s4, s5, v[0:1]
	v_mov_b32_e32 v2, 0
	v_lshlrev_b64 v[1:2], 2, v[1:2]
	s_delay_alu instid0(VALU_DEP_1) | instskip(NEXT) | instid1(VALU_DEP_2)
	v_add_co_u32 v1, vcc_lo, s0, v1
	v_add_co_ci_u32_e32 v2, vcc_lo, s1, v2, vcc_lo
	s_movk_i32 s0, 0x64
	global_load_b32 v1, v[1:2], off
	v_lshlrev_b32_e32 v2, 2, v0
	s_delay_alu instid0(VALU_DEP_1)
	v_add_nc_u32_e32 v4, v2, v2
	.p2align	6
.LBB77_1:                               ; =>This Inner Loop Header: Depth=1
	s_waitcnt vmcnt(0) lgkmcnt(0)
	ds_store_b32 v2, v1
	s_waitcnt lgkmcnt(0)
	s_barrier
	buffer_gl0_inv
	ds_load_b64 v[5:6], v4
	s_add_i32 s0, s0, -1
	s_delay_alu instid0(SALU_CYCLE_1) | instskip(SKIP_2) | instid1(VALU_DEP_1)
	s_cmp_eq_u32 s0, 0
	s_waitcnt lgkmcnt(0)
	v_add_f32_e32 v1, v5, v6
	v_mov_b32_dpp v5, v1 quad_perm:[1,0,3,2] row_mask:0xf bank_mask:0xf
	s_delay_alu instid0(VALU_DEP_1) | instskip(NEXT) | instid1(VALU_DEP_1)
	v_add_f32_e32 v1, v1, v5
	v_mov_b32_dpp v5, v1 quad_perm:[2,3,0,1] row_mask:0xf bank_mask:0xf
	s_delay_alu instid0(VALU_DEP_1) | instskip(NEXT) | instid1(VALU_DEP_1)
	v_add_f32_e32 v1, v1, v5
	v_mov_b32_dpp v5, v1 row_ror:4 row_mask:0xf bank_mask:0xf
	s_delay_alu instid0(VALU_DEP_1) | instskip(NEXT) | instid1(VALU_DEP_1)
	v_add_f32_e32 v1, v1, v5
	v_mov_b32_dpp v5, v1 row_ror:8 row_mask:0xf bank_mask:0xf
	s_delay_alu instid0(VALU_DEP_1)
	v_add_f32_e32 v1, v1, v5
	ds_swizzle_b32 v5, v1 offset:swizzle(BROADCAST,32,15)
	s_waitcnt lgkmcnt(0)
	v_add_f32_e32 v1, v1, v5
	ds_bpermute_b32 v1, v3, v1
	s_cbranch_scc0 .LBB77_1
; %bb.2:
	s_mov_b32 s5, 0
	s_mov_b32 s0, exec_lo
	v_cmpx_eq_u32_e32 0, v0
	s_cbranch_execz .LBB77_4
; %bb.3:
	s_lshl_b64 s[0:1], s[4:5], 2
	v_mov_b32_e32 v0, 0
	s_add_u32 s0, s2, s0
	s_addc_u32 s1, s3, s1
	s_waitcnt lgkmcnt(0)
	global_store_b32 v0, v1, s[0:1]
.LBB77_4:
	s_nop 0
	s_sendmsg sendmsg(MSG_DEALLOC_VGPRS)
	s_endpgm
	.section	.rodata,"a",@progbits
	.p2align	6, 0x0
	.amdhsa_kernel _Z6kernelI6reduceILN6hipcub20BlockReduceAlgorithmE1EEfLj64ELj1ELj100EEvPKT0_PS4_
		.amdhsa_group_segment_fixed_size 256
		.amdhsa_private_segment_fixed_size 0
		.amdhsa_kernarg_size 272
		.amdhsa_user_sgpr_count 15
		.amdhsa_user_sgpr_dispatch_ptr 0
		.amdhsa_user_sgpr_queue_ptr 0
		.amdhsa_user_sgpr_kernarg_segment_ptr 1
		.amdhsa_user_sgpr_dispatch_id 0
		.amdhsa_user_sgpr_private_segment_size 0
		.amdhsa_wavefront_size32 1
		.amdhsa_uses_dynamic_stack 0
		.amdhsa_enable_private_segment 0
		.amdhsa_system_sgpr_workgroup_id_x 1
		.amdhsa_system_sgpr_workgroup_id_y 0
		.amdhsa_system_sgpr_workgroup_id_z 0
		.amdhsa_system_sgpr_workgroup_info 0
		.amdhsa_system_vgpr_workitem_id 0
		.amdhsa_next_free_vgpr 7
		.amdhsa_next_free_sgpr 16
		.amdhsa_reserve_vcc 1
		.amdhsa_float_round_mode_32 0
		.amdhsa_float_round_mode_16_64 0
		.amdhsa_float_denorm_mode_32 3
		.amdhsa_float_denorm_mode_16_64 3
		.amdhsa_dx10_clamp 1
		.amdhsa_ieee_mode 1
		.amdhsa_fp16_overflow 0
		.amdhsa_workgroup_processor_mode 1
		.amdhsa_memory_ordered 1
		.amdhsa_forward_progress 0
		.amdhsa_shared_vgpr_count 0
		.amdhsa_exception_fp_ieee_invalid_op 0
		.amdhsa_exception_fp_denorm_src 0
		.amdhsa_exception_fp_ieee_div_zero 0
		.amdhsa_exception_fp_ieee_overflow 0
		.amdhsa_exception_fp_ieee_underflow 0
		.amdhsa_exception_fp_ieee_inexact 0
		.amdhsa_exception_int_div_zero 0
	.end_amdhsa_kernel
	.section	.text._Z6kernelI6reduceILN6hipcub20BlockReduceAlgorithmE1EEfLj64ELj1ELj100EEvPKT0_PS4_,"axG",@progbits,_Z6kernelI6reduceILN6hipcub20BlockReduceAlgorithmE1EEfLj64ELj1ELj100EEvPKT0_PS4_,comdat
.Lfunc_end77:
	.size	_Z6kernelI6reduceILN6hipcub20BlockReduceAlgorithmE1EEfLj64ELj1ELj100EEvPKT0_PS4_, .Lfunc_end77-_Z6kernelI6reduceILN6hipcub20BlockReduceAlgorithmE1EEfLj64ELj1ELj100EEvPKT0_PS4_
                                        ; -- End function
	.section	.AMDGPU.csdata,"",@progbits
; Kernel info:
; codeLenInByte = 312
; NumSgprs: 18
; NumVgprs: 7
; ScratchSize: 0
; MemoryBound: 0
; FloatMode: 240
; IeeeMode: 1
; LDSByteSize: 256 bytes/workgroup (compile time only)
; SGPRBlocks: 2
; VGPRBlocks: 0
; NumSGPRsForWavesPerEU: 18
; NumVGPRsForWavesPerEU: 7
; Occupancy: 16
; WaveLimiterHint : 0
; COMPUTE_PGM_RSRC2:SCRATCH_EN: 0
; COMPUTE_PGM_RSRC2:USER_SGPR: 15
; COMPUTE_PGM_RSRC2:TRAP_HANDLER: 0
; COMPUTE_PGM_RSRC2:TGID_X_EN: 1
; COMPUTE_PGM_RSRC2:TGID_Y_EN: 0
; COMPUTE_PGM_RSRC2:TGID_Z_EN: 0
; COMPUTE_PGM_RSRC2:TIDIG_COMP_CNT: 0
	.section	.text._Z6kernelI6reduceILN6hipcub20BlockReduceAlgorithmE1EEfLj64ELj2ELj100EEvPKT0_PS4_,"axG",@progbits,_Z6kernelI6reduceILN6hipcub20BlockReduceAlgorithmE1EEfLj64ELj2ELj100EEvPKT0_PS4_,comdat
	.protected	_Z6kernelI6reduceILN6hipcub20BlockReduceAlgorithmE1EEfLj64ELj2ELj100EEvPKT0_PS4_ ; -- Begin function _Z6kernelI6reduceILN6hipcub20BlockReduceAlgorithmE1EEfLj64ELj2ELj100EEvPKT0_PS4_
	.globl	_Z6kernelI6reduceILN6hipcub20BlockReduceAlgorithmE1EEfLj64ELj2ELj100EEvPKT0_PS4_
	.p2align	8
	.type	_Z6kernelI6reduceILN6hipcub20BlockReduceAlgorithmE1EEfLj64ELj2ELj100EEvPKT0_PS4_,@function
_Z6kernelI6reduceILN6hipcub20BlockReduceAlgorithmE1EEfLj64ELj2ELj100EEvPKT0_PS4_: ; @_Z6kernelI6reduceILN6hipcub20BlockReduceAlgorithmE1EEfLj64ELj2ELj100EEvPKT0_PS4_
; %bb.0:
	s_clause 0x1
	s_load_b32 s5, s[0:1], 0x1c
	s_load_b128 s[0:3], s[0:1], 0x0
	v_dual_mov_b32 v2, 0 :: v_dual_lshlrev_b32 v3, 2, v0
	v_mov_b32_e32 v4, 0x7c
	s_mov_b32 s4, s15
	s_delay_alu instid0(VALU_DEP_2) | instskip(SKIP_2) | instid1(SALU_CYCLE_1)
	v_add_nc_u32_e32 v5, v3, v3
	s_waitcnt lgkmcnt(0)
	s_and_b32 s5, s5, 0xffff
	s_mul_i32 s5, s15, s5
	s_delay_alu instid0(SALU_CYCLE_1) | instskip(NEXT) | instid1(VALU_DEP_1)
	v_add_lshl_u32 v1, s5, v0, 1
	v_lshlrev_b64 v[1:2], 2, v[1:2]
	s_delay_alu instid0(VALU_DEP_1) | instskip(NEXT) | instid1(VALU_DEP_2)
	v_add_co_u32 v1, vcc_lo, s0, v1
	v_add_co_ci_u32_e32 v2, vcc_lo, s1, v2, vcc_lo
	s_movk_i32 s0, 0x64
	global_load_b64 v[1:2], v[1:2], off
	.p2align	6
.LBB78_1:                               ; =>This Inner Loop Header: Depth=1
	s_waitcnt vmcnt(0) lgkmcnt(0)
	v_add_f32_e32 v1, v1, v2
	s_add_i32 s0, s0, -1
	s_delay_alu instid0(SALU_CYCLE_1)
	s_cmp_eq_u32 s0, 0
	ds_store_b32 v3, v1
	s_waitcnt lgkmcnt(0)
	s_barrier
	buffer_gl0_inv
	ds_load_b64 v[6:7], v5
	s_waitcnt lgkmcnt(0)
	v_add_f32_e32 v1, v6, v7
	s_delay_alu instid0(VALU_DEP_1) | instskip(NEXT) | instid1(VALU_DEP_1)
	v_mov_b32_dpp v6, v1 quad_perm:[1,0,3,2] row_mask:0xf bank_mask:0xf
	v_add_f32_e32 v1, v1, v6
	s_delay_alu instid0(VALU_DEP_1) | instskip(NEXT) | instid1(VALU_DEP_1)
	v_mov_b32_dpp v6, v1 quad_perm:[2,3,0,1] row_mask:0xf bank_mask:0xf
	v_add_f32_e32 v1, v1, v6
	s_delay_alu instid0(VALU_DEP_1) | instskip(NEXT) | instid1(VALU_DEP_1)
	v_mov_b32_dpp v6, v1 row_ror:4 row_mask:0xf bank_mask:0xf
	v_add_f32_e32 v1, v1, v6
	s_delay_alu instid0(VALU_DEP_1) | instskip(NEXT) | instid1(VALU_DEP_1)
	v_mov_b32_dpp v6, v1 row_ror:8 row_mask:0xf bank_mask:0xf
	v_add_f32_e32 v1, v1, v6
	ds_swizzle_b32 v6, v1 offset:swizzle(BROADCAST,32,15)
	s_waitcnt lgkmcnt(0)
	v_add_f32_e32 v1, v1, v6
	ds_bpermute_b32 v1, v4, v1
	s_cbranch_scc0 .LBB78_1
; %bb.2:
	s_mov_b32 s5, 0
	s_mov_b32 s0, exec_lo
	v_cmpx_eq_u32_e32 0, v0
	s_cbranch_execz .LBB78_4
; %bb.3:
	s_lshl_b64 s[0:1], s[4:5], 2
	v_mov_b32_e32 v0, 0
	s_add_u32 s0, s2, s0
	s_addc_u32 s1, s3, s1
	s_waitcnt lgkmcnt(0)
	global_store_b32 v0, v1, s[0:1]
.LBB78_4:
	s_nop 0
	s_sendmsg sendmsg(MSG_DEALLOC_VGPRS)
	s_endpgm
	.section	.rodata,"a",@progbits
	.p2align	6, 0x0
	.amdhsa_kernel _Z6kernelI6reduceILN6hipcub20BlockReduceAlgorithmE1EEfLj64ELj2ELj100EEvPKT0_PS4_
		.amdhsa_group_segment_fixed_size 256
		.amdhsa_private_segment_fixed_size 0
		.amdhsa_kernarg_size 272
		.amdhsa_user_sgpr_count 15
		.amdhsa_user_sgpr_dispatch_ptr 0
		.amdhsa_user_sgpr_queue_ptr 0
		.amdhsa_user_sgpr_kernarg_segment_ptr 1
		.amdhsa_user_sgpr_dispatch_id 0
		.amdhsa_user_sgpr_private_segment_size 0
		.amdhsa_wavefront_size32 1
		.amdhsa_uses_dynamic_stack 0
		.amdhsa_enable_private_segment 0
		.amdhsa_system_sgpr_workgroup_id_x 1
		.amdhsa_system_sgpr_workgroup_id_y 0
		.amdhsa_system_sgpr_workgroup_id_z 0
		.amdhsa_system_sgpr_workgroup_info 0
		.amdhsa_system_vgpr_workitem_id 0
		.amdhsa_next_free_vgpr 8
		.amdhsa_next_free_sgpr 16
		.amdhsa_reserve_vcc 1
		.amdhsa_float_round_mode_32 0
		.amdhsa_float_round_mode_16_64 0
		.amdhsa_float_denorm_mode_32 3
		.amdhsa_float_denorm_mode_16_64 3
		.amdhsa_dx10_clamp 1
		.amdhsa_ieee_mode 1
		.amdhsa_fp16_overflow 0
		.amdhsa_workgroup_processor_mode 1
		.amdhsa_memory_ordered 1
		.amdhsa_forward_progress 0
		.amdhsa_shared_vgpr_count 0
		.amdhsa_exception_fp_ieee_invalid_op 0
		.amdhsa_exception_fp_denorm_src 0
		.amdhsa_exception_fp_ieee_div_zero 0
		.amdhsa_exception_fp_ieee_overflow 0
		.amdhsa_exception_fp_ieee_underflow 0
		.amdhsa_exception_fp_ieee_inexact 0
		.amdhsa_exception_int_div_zero 0
	.end_amdhsa_kernel
	.section	.text._Z6kernelI6reduceILN6hipcub20BlockReduceAlgorithmE1EEfLj64ELj2ELj100EEvPKT0_PS4_,"axG",@progbits,_Z6kernelI6reduceILN6hipcub20BlockReduceAlgorithmE1EEfLj64ELj2ELj100EEvPKT0_PS4_,comdat
.Lfunc_end78:
	.size	_Z6kernelI6reduceILN6hipcub20BlockReduceAlgorithmE1EEfLj64ELj2ELj100EEvPKT0_PS4_, .Lfunc_end78-_Z6kernelI6reduceILN6hipcub20BlockReduceAlgorithmE1EEfLj64ELj2ELj100EEvPKT0_PS4_
                                        ; -- End function
	.section	.AMDGPU.csdata,"",@progbits
; Kernel info:
; codeLenInByte = 320
; NumSgprs: 18
; NumVgprs: 8
; ScratchSize: 0
; MemoryBound: 0
; FloatMode: 240
; IeeeMode: 1
; LDSByteSize: 256 bytes/workgroup (compile time only)
; SGPRBlocks: 2
; VGPRBlocks: 0
; NumSGPRsForWavesPerEU: 18
; NumVGPRsForWavesPerEU: 8
; Occupancy: 16
; WaveLimiterHint : 0
; COMPUTE_PGM_RSRC2:SCRATCH_EN: 0
; COMPUTE_PGM_RSRC2:USER_SGPR: 15
; COMPUTE_PGM_RSRC2:TRAP_HANDLER: 0
; COMPUTE_PGM_RSRC2:TGID_X_EN: 1
; COMPUTE_PGM_RSRC2:TGID_Y_EN: 0
; COMPUTE_PGM_RSRC2:TGID_Z_EN: 0
; COMPUTE_PGM_RSRC2:TIDIG_COMP_CNT: 0
	.section	.text._Z6kernelI6reduceILN6hipcub20BlockReduceAlgorithmE1EEfLj64ELj3ELj100EEvPKT0_PS4_,"axG",@progbits,_Z6kernelI6reduceILN6hipcub20BlockReduceAlgorithmE1EEfLj64ELj3ELj100EEvPKT0_PS4_,comdat
	.protected	_Z6kernelI6reduceILN6hipcub20BlockReduceAlgorithmE1EEfLj64ELj3ELj100EEvPKT0_PS4_ ; -- Begin function _Z6kernelI6reduceILN6hipcub20BlockReduceAlgorithmE1EEfLj64ELj3ELj100EEvPKT0_PS4_
	.globl	_Z6kernelI6reduceILN6hipcub20BlockReduceAlgorithmE1EEfLj64ELj3ELj100EEvPKT0_PS4_
	.p2align	8
	.type	_Z6kernelI6reduceILN6hipcub20BlockReduceAlgorithmE1EEfLj64ELj3ELj100EEvPKT0_PS4_,@function
_Z6kernelI6reduceILN6hipcub20BlockReduceAlgorithmE1EEfLj64ELj3ELj100EEvPKT0_PS4_: ; @_Z6kernelI6reduceILN6hipcub20BlockReduceAlgorithmE1EEfLj64ELj3ELj100EEvPKT0_PS4_
; %bb.0:
	s_load_b32 s2, s[0:1], 0x1c
	s_mov_b32 s4, s15
	s_waitcnt lgkmcnt(0)
	s_and_b32 s2, s2, 0xffff
	s_delay_alu instid0(SALU_CYCLE_1) | instskip(SKIP_1) | instid1(VALU_DEP_1)
	v_mad_u64_u32 v[1:2], null, s4, s2, v[0:1]
	s_load_b128 s[0:3], s[0:1], 0x0
	v_lshl_add_u32 v1, v1, 1, v1
	s_delay_alu instid0(VALU_DEP_1) | instskip(NEXT) | instid1(VALU_DEP_1)
	v_dual_mov_b32 v2, 0 :: v_dual_add_nc_u32 v3, 1, v1
	v_mov_b32_e32 v4, v2
	v_lshlrev_b64 v[5:6], 2, v[1:2]
	v_add_nc_u32_e32 v1, 2, v1
	s_delay_alu instid0(VALU_DEP_3) | instskip(NEXT) | instid1(VALU_DEP_2)
	v_lshlrev_b64 v[3:4], 2, v[3:4]
	v_lshlrev_b64 v[1:2], 2, v[1:2]
	s_waitcnt lgkmcnt(0)
	s_delay_alu instid0(VALU_DEP_4) | instskip(SKIP_1) | instid1(VALU_DEP_4)
	v_add_co_u32 v5, vcc_lo, s0, v5
	v_add_co_ci_u32_e32 v6, vcc_lo, s1, v6, vcc_lo
	v_add_co_u32 v3, vcc_lo, s0, v3
	v_add_co_ci_u32_e32 v4, vcc_lo, s1, v4, vcc_lo
	;; [unrolled: 2-line block ×3, first 2 shown]
	s_clause 0x2
	global_load_b32 v1, v[5:6], off
	global_load_b32 v2, v[3:4], off
	;; [unrolled: 1-line block ×3, first 2 shown]
	v_dual_mov_b32 v5, 0x7c :: v_dual_lshlrev_b32 v4, 2, v0
	s_movk_i32 s0, 0x64
	s_delay_alu instid0(VALU_DEP_1)
	v_add_nc_u32_e32 v6, v4, v4
	.p2align	6
.LBB79_1:                               ; =>This Inner Loop Header: Depth=1
	s_waitcnt vmcnt(1) lgkmcnt(0)
	v_add_f32_e32 v1, v1, v2
	s_add_i32 s0, s0, -1
	s_delay_alu instid0(SALU_CYCLE_1) | instskip(SKIP_1) | instid1(VALU_DEP_1)
	s_cmp_eq_u32 s0, 0
	s_waitcnt vmcnt(0)
	v_add_f32_e32 v1, v3, v1
	ds_store_b32 v4, v1
	s_waitcnt lgkmcnt(0)
	s_barrier
	buffer_gl0_inv
	ds_load_b64 v[7:8], v6
	s_waitcnt lgkmcnt(0)
	v_add_f32_e32 v1, v7, v8
	s_delay_alu instid0(VALU_DEP_1) | instskip(NEXT) | instid1(VALU_DEP_1)
	v_mov_b32_dpp v7, v1 quad_perm:[1,0,3,2] row_mask:0xf bank_mask:0xf
	v_add_f32_e32 v1, v1, v7
	s_delay_alu instid0(VALU_DEP_1) | instskip(NEXT) | instid1(VALU_DEP_1)
	v_mov_b32_dpp v7, v1 quad_perm:[2,3,0,1] row_mask:0xf bank_mask:0xf
	v_add_f32_e32 v1, v1, v7
	s_delay_alu instid0(VALU_DEP_1) | instskip(NEXT) | instid1(VALU_DEP_1)
	v_mov_b32_dpp v7, v1 row_ror:4 row_mask:0xf bank_mask:0xf
	v_add_f32_e32 v1, v1, v7
	s_delay_alu instid0(VALU_DEP_1) | instskip(NEXT) | instid1(VALU_DEP_1)
	v_mov_b32_dpp v7, v1 row_ror:8 row_mask:0xf bank_mask:0xf
	v_add_f32_e32 v1, v1, v7
	ds_swizzle_b32 v7, v1 offset:swizzle(BROADCAST,32,15)
	s_waitcnt lgkmcnt(0)
	v_add_f32_e32 v1, v1, v7
	ds_bpermute_b32 v1, v5, v1
	s_cbranch_scc0 .LBB79_1
; %bb.2:
	s_mov_b32 s5, 0
	s_mov_b32 s0, exec_lo
	v_cmpx_eq_u32_e32 0, v0
	s_cbranch_execz .LBB79_4
; %bb.3:
	s_lshl_b64 s[0:1], s[4:5], 2
	v_mov_b32_e32 v0, 0
	s_add_u32 s0, s2, s0
	s_addc_u32 s1, s3, s1
	s_waitcnt lgkmcnt(0)
	global_store_b32 v0, v1, s[0:1]
.LBB79_4:
	s_nop 0
	s_sendmsg sendmsg(MSG_DEALLOC_VGPRS)
	s_endpgm
	.section	.rodata,"a",@progbits
	.p2align	6, 0x0
	.amdhsa_kernel _Z6kernelI6reduceILN6hipcub20BlockReduceAlgorithmE1EEfLj64ELj3ELj100EEvPKT0_PS4_
		.amdhsa_group_segment_fixed_size 256
		.amdhsa_private_segment_fixed_size 0
		.amdhsa_kernarg_size 272
		.amdhsa_user_sgpr_count 15
		.amdhsa_user_sgpr_dispatch_ptr 0
		.amdhsa_user_sgpr_queue_ptr 0
		.amdhsa_user_sgpr_kernarg_segment_ptr 1
		.amdhsa_user_sgpr_dispatch_id 0
		.amdhsa_user_sgpr_private_segment_size 0
		.amdhsa_wavefront_size32 1
		.amdhsa_uses_dynamic_stack 0
		.amdhsa_enable_private_segment 0
		.amdhsa_system_sgpr_workgroup_id_x 1
		.amdhsa_system_sgpr_workgroup_id_y 0
		.amdhsa_system_sgpr_workgroup_id_z 0
		.amdhsa_system_sgpr_workgroup_info 0
		.amdhsa_system_vgpr_workitem_id 0
		.amdhsa_next_free_vgpr 9
		.amdhsa_next_free_sgpr 16
		.amdhsa_reserve_vcc 1
		.amdhsa_float_round_mode_32 0
		.amdhsa_float_round_mode_16_64 0
		.amdhsa_float_denorm_mode_32 3
		.amdhsa_float_denorm_mode_16_64 3
		.amdhsa_dx10_clamp 1
		.amdhsa_ieee_mode 1
		.amdhsa_fp16_overflow 0
		.amdhsa_workgroup_processor_mode 1
		.amdhsa_memory_ordered 1
		.amdhsa_forward_progress 0
		.amdhsa_shared_vgpr_count 0
		.amdhsa_exception_fp_ieee_invalid_op 0
		.amdhsa_exception_fp_denorm_src 0
		.amdhsa_exception_fp_ieee_div_zero 0
		.amdhsa_exception_fp_ieee_overflow 0
		.amdhsa_exception_fp_ieee_underflow 0
		.amdhsa_exception_fp_ieee_inexact 0
		.amdhsa_exception_int_div_zero 0
	.end_amdhsa_kernel
	.section	.text._Z6kernelI6reduceILN6hipcub20BlockReduceAlgorithmE1EEfLj64ELj3ELj100EEvPKT0_PS4_,"axG",@progbits,_Z6kernelI6reduceILN6hipcub20BlockReduceAlgorithmE1EEfLj64ELj3ELj100EEvPKT0_PS4_,comdat
.Lfunc_end79:
	.size	_Z6kernelI6reduceILN6hipcub20BlockReduceAlgorithmE1EEfLj64ELj3ELj100EEvPKT0_PS4_, .Lfunc_end79-_Z6kernelI6reduceILN6hipcub20BlockReduceAlgorithmE1EEfLj64ELj3ELj100EEvPKT0_PS4_
                                        ; -- End function
	.section	.AMDGPU.csdata,"",@progbits
; Kernel info:
; codeLenInByte = 412
; NumSgprs: 18
; NumVgprs: 9
; ScratchSize: 0
; MemoryBound: 0
; FloatMode: 240
; IeeeMode: 1
; LDSByteSize: 256 bytes/workgroup (compile time only)
; SGPRBlocks: 2
; VGPRBlocks: 1
; NumSGPRsForWavesPerEU: 18
; NumVGPRsForWavesPerEU: 9
; Occupancy: 16
; WaveLimiterHint : 0
; COMPUTE_PGM_RSRC2:SCRATCH_EN: 0
; COMPUTE_PGM_RSRC2:USER_SGPR: 15
; COMPUTE_PGM_RSRC2:TRAP_HANDLER: 0
; COMPUTE_PGM_RSRC2:TGID_X_EN: 1
; COMPUTE_PGM_RSRC2:TGID_Y_EN: 0
; COMPUTE_PGM_RSRC2:TGID_Z_EN: 0
; COMPUTE_PGM_RSRC2:TIDIG_COMP_CNT: 0
	.section	.text._Z6kernelI6reduceILN6hipcub20BlockReduceAlgorithmE1EEfLj64ELj4ELj100EEvPKT0_PS4_,"axG",@progbits,_Z6kernelI6reduceILN6hipcub20BlockReduceAlgorithmE1EEfLj64ELj4ELj100EEvPKT0_PS4_,comdat
	.protected	_Z6kernelI6reduceILN6hipcub20BlockReduceAlgorithmE1EEfLj64ELj4ELj100EEvPKT0_PS4_ ; -- Begin function _Z6kernelI6reduceILN6hipcub20BlockReduceAlgorithmE1EEfLj64ELj4ELj100EEvPKT0_PS4_
	.globl	_Z6kernelI6reduceILN6hipcub20BlockReduceAlgorithmE1EEfLj64ELj4ELj100EEvPKT0_PS4_
	.p2align	8
	.type	_Z6kernelI6reduceILN6hipcub20BlockReduceAlgorithmE1EEfLj64ELj4ELj100EEvPKT0_PS4_,@function
_Z6kernelI6reduceILN6hipcub20BlockReduceAlgorithmE1EEfLj64ELj4ELj100EEvPKT0_PS4_: ; @_Z6kernelI6reduceILN6hipcub20BlockReduceAlgorithmE1EEfLj64ELj4ELj100EEvPKT0_PS4_
; %bb.0:
	s_clause 0x1
	s_load_b32 s5, s[0:1], 0x1c
	s_load_b128 s[0:3], s[0:1], 0x0
	v_dual_mov_b32 v2, 0 :: v_dual_lshlrev_b32 v5, 2, v0
	v_mov_b32_e32 v6, 0x7c
	s_mov_b32 s4, s15
	s_delay_alu instid0(VALU_DEP_2) | instskip(SKIP_2) | instid1(SALU_CYCLE_1)
	v_add_nc_u32_e32 v7, v5, v5
	s_waitcnt lgkmcnt(0)
	s_and_b32 s5, s5, 0xffff
	s_mul_i32 s5, s15, s5
	s_delay_alu instid0(SALU_CYCLE_1) | instskip(NEXT) | instid1(VALU_DEP_1)
	v_add_lshl_u32 v1, s5, v0, 2
	v_lshlrev_b64 v[1:2], 2, v[1:2]
	s_delay_alu instid0(VALU_DEP_1) | instskip(NEXT) | instid1(VALU_DEP_2)
	v_add_co_u32 v1, vcc_lo, s0, v1
	v_add_co_ci_u32_e32 v2, vcc_lo, s1, v2, vcc_lo
	s_movk_i32 s0, 0x64
	global_load_b128 v[1:4], v[1:2], off
	.p2align	6
.LBB80_1:                               ; =>This Inner Loop Header: Depth=1
	s_waitcnt vmcnt(0) lgkmcnt(0)
	v_add_f32_e32 v1, v1, v2
	s_add_i32 s0, s0, -1
	s_delay_alu instid0(SALU_CYCLE_1) | instskip(NEXT) | instid1(VALU_DEP_1)
	s_cmp_eq_u32 s0, 0
	v_add_f32_e32 v1, v3, v1
	s_delay_alu instid0(VALU_DEP_1)
	v_add_f32_e32 v1, v4, v1
	ds_store_b32 v5, v1
	s_waitcnt lgkmcnt(0)
	s_barrier
	buffer_gl0_inv
	ds_load_b64 v[8:9], v7
	s_waitcnt lgkmcnt(0)
	v_add_f32_e32 v1, v8, v9
	s_delay_alu instid0(VALU_DEP_1) | instskip(NEXT) | instid1(VALU_DEP_1)
	v_mov_b32_dpp v8, v1 quad_perm:[1,0,3,2] row_mask:0xf bank_mask:0xf
	v_add_f32_e32 v1, v1, v8
	s_delay_alu instid0(VALU_DEP_1) | instskip(NEXT) | instid1(VALU_DEP_1)
	v_mov_b32_dpp v8, v1 quad_perm:[2,3,0,1] row_mask:0xf bank_mask:0xf
	v_add_f32_e32 v1, v1, v8
	s_delay_alu instid0(VALU_DEP_1) | instskip(NEXT) | instid1(VALU_DEP_1)
	v_mov_b32_dpp v8, v1 row_ror:4 row_mask:0xf bank_mask:0xf
	v_add_f32_e32 v1, v1, v8
	s_delay_alu instid0(VALU_DEP_1) | instskip(NEXT) | instid1(VALU_DEP_1)
	v_mov_b32_dpp v8, v1 row_ror:8 row_mask:0xf bank_mask:0xf
	v_add_f32_e32 v1, v1, v8
	ds_swizzle_b32 v8, v1 offset:swizzle(BROADCAST,32,15)
	s_waitcnt lgkmcnt(0)
	v_add_f32_e32 v1, v1, v8
	ds_bpermute_b32 v1, v6, v1
	s_cbranch_scc0 .LBB80_1
; %bb.2:
	s_mov_b32 s5, 0
	s_mov_b32 s0, exec_lo
	v_cmpx_eq_u32_e32 0, v0
	s_cbranch_execz .LBB80_4
; %bb.3:
	s_lshl_b64 s[0:1], s[4:5], 2
	v_mov_b32_e32 v0, 0
	s_add_u32 s0, s2, s0
	s_addc_u32 s1, s3, s1
	s_waitcnt lgkmcnt(0)
	global_store_b32 v0, v1, s[0:1]
.LBB80_4:
	s_nop 0
	s_sendmsg sendmsg(MSG_DEALLOC_VGPRS)
	s_endpgm
	.section	.rodata,"a",@progbits
	.p2align	6, 0x0
	.amdhsa_kernel _Z6kernelI6reduceILN6hipcub20BlockReduceAlgorithmE1EEfLj64ELj4ELj100EEvPKT0_PS4_
		.amdhsa_group_segment_fixed_size 256
		.amdhsa_private_segment_fixed_size 0
		.amdhsa_kernarg_size 272
		.amdhsa_user_sgpr_count 15
		.amdhsa_user_sgpr_dispatch_ptr 0
		.amdhsa_user_sgpr_queue_ptr 0
		.amdhsa_user_sgpr_kernarg_segment_ptr 1
		.amdhsa_user_sgpr_dispatch_id 0
		.amdhsa_user_sgpr_private_segment_size 0
		.amdhsa_wavefront_size32 1
		.amdhsa_uses_dynamic_stack 0
		.amdhsa_enable_private_segment 0
		.amdhsa_system_sgpr_workgroup_id_x 1
		.amdhsa_system_sgpr_workgroup_id_y 0
		.amdhsa_system_sgpr_workgroup_id_z 0
		.amdhsa_system_sgpr_workgroup_info 0
		.amdhsa_system_vgpr_workitem_id 0
		.amdhsa_next_free_vgpr 10
		.amdhsa_next_free_sgpr 16
		.amdhsa_reserve_vcc 1
		.amdhsa_float_round_mode_32 0
		.amdhsa_float_round_mode_16_64 0
		.amdhsa_float_denorm_mode_32 3
		.amdhsa_float_denorm_mode_16_64 3
		.amdhsa_dx10_clamp 1
		.amdhsa_ieee_mode 1
		.amdhsa_fp16_overflow 0
		.amdhsa_workgroup_processor_mode 1
		.amdhsa_memory_ordered 1
		.amdhsa_forward_progress 0
		.amdhsa_shared_vgpr_count 0
		.amdhsa_exception_fp_ieee_invalid_op 0
		.amdhsa_exception_fp_denorm_src 0
		.amdhsa_exception_fp_ieee_div_zero 0
		.amdhsa_exception_fp_ieee_overflow 0
		.amdhsa_exception_fp_ieee_underflow 0
		.amdhsa_exception_fp_ieee_inexact 0
		.amdhsa_exception_int_div_zero 0
	.end_amdhsa_kernel
	.section	.text._Z6kernelI6reduceILN6hipcub20BlockReduceAlgorithmE1EEfLj64ELj4ELj100EEvPKT0_PS4_,"axG",@progbits,_Z6kernelI6reduceILN6hipcub20BlockReduceAlgorithmE1EEfLj64ELj4ELj100EEvPKT0_PS4_,comdat
.Lfunc_end80:
	.size	_Z6kernelI6reduceILN6hipcub20BlockReduceAlgorithmE1EEfLj64ELj4ELj100EEvPKT0_PS4_, .Lfunc_end80-_Z6kernelI6reduceILN6hipcub20BlockReduceAlgorithmE1EEfLj64ELj4ELj100EEvPKT0_PS4_
                                        ; -- End function
	.section	.AMDGPU.csdata,"",@progbits
; Kernel info:
; codeLenInByte = 332
; NumSgprs: 18
; NumVgprs: 10
; ScratchSize: 0
; MemoryBound: 0
; FloatMode: 240
; IeeeMode: 1
; LDSByteSize: 256 bytes/workgroup (compile time only)
; SGPRBlocks: 2
; VGPRBlocks: 1
; NumSGPRsForWavesPerEU: 18
; NumVGPRsForWavesPerEU: 10
; Occupancy: 16
; WaveLimiterHint : 0
; COMPUTE_PGM_RSRC2:SCRATCH_EN: 0
; COMPUTE_PGM_RSRC2:USER_SGPR: 15
; COMPUTE_PGM_RSRC2:TRAP_HANDLER: 0
; COMPUTE_PGM_RSRC2:TGID_X_EN: 1
; COMPUTE_PGM_RSRC2:TGID_Y_EN: 0
; COMPUTE_PGM_RSRC2:TGID_Z_EN: 0
; COMPUTE_PGM_RSRC2:TIDIG_COMP_CNT: 0
	.section	.text._Z6kernelI6reduceILN6hipcub20BlockReduceAlgorithmE1EEfLj64ELj8ELj100EEvPKT0_PS4_,"axG",@progbits,_Z6kernelI6reduceILN6hipcub20BlockReduceAlgorithmE1EEfLj64ELj8ELj100EEvPKT0_PS4_,comdat
	.protected	_Z6kernelI6reduceILN6hipcub20BlockReduceAlgorithmE1EEfLj64ELj8ELj100EEvPKT0_PS4_ ; -- Begin function _Z6kernelI6reduceILN6hipcub20BlockReduceAlgorithmE1EEfLj64ELj8ELj100EEvPKT0_PS4_
	.globl	_Z6kernelI6reduceILN6hipcub20BlockReduceAlgorithmE1EEfLj64ELj8ELj100EEvPKT0_PS4_
	.p2align	8
	.type	_Z6kernelI6reduceILN6hipcub20BlockReduceAlgorithmE1EEfLj64ELj8ELj100EEvPKT0_PS4_,@function
_Z6kernelI6reduceILN6hipcub20BlockReduceAlgorithmE1EEfLj64ELj8ELj100EEvPKT0_PS4_: ; @_Z6kernelI6reduceILN6hipcub20BlockReduceAlgorithmE1EEfLj64ELj8ELj100EEvPKT0_PS4_
; %bb.0:
	s_clause 0x1
	s_load_b32 s5, s[0:1], 0x1c
	s_load_b128 s[0:3], s[0:1], 0x0
	v_dual_mov_b32 v2, 0 :: v_dual_lshlrev_b32 v9, 2, v0
	v_mov_b32_e32 v10, 0x7c
	s_mov_b32 s4, s15
	s_delay_alu instid0(VALU_DEP_2) | instskip(SKIP_2) | instid1(SALU_CYCLE_1)
	v_add_nc_u32_e32 v11, v9, v9
	s_waitcnt lgkmcnt(0)
	s_and_b32 s5, s5, 0xffff
	s_mul_i32 s5, s15, s5
	s_delay_alu instid0(SALU_CYCLE_1) | instskip(NEXT) | instid1(VALU_DEP_1)
	v_add_lshl_u32 v1, s5, v0, 3
	v_lshlrev_b64 v[1:2], 2, v[1:2]
	s_delay_alu instid0(VALU_DEP_1) | instskip(NEXT) | instid1(VALU_DEP_2)
	v_add_co_u32 v5, vcc_lo, s0, v1
	v_add_co_ci_u32_e32 v6, vcc_lo, s1, v2, vcc_lo
	s_movk_i32 s0, 0x64
	s_clause 0x1
	global_load_b128 v[1:4], v[5:6], off
	global_load_b128 v[5:8], v[5:6], off offset:16
	s_set_inst_prefetch_distance 0x1
	.p2align	6
.LBB81_1:                               ; =>This Inner Loop Header: Depth=1
	s_waitcnt vmcnt(1) lgkmcnt(0)
	v_add_f32_e32 v1, v1, v2
	s_add_i32 s0, s0, -1
	s_delay_alu instid0(SALU_CYCLE_1) | instskip(NEXT) | instid1(VALU_DEP_1)
	s_cmp_eq_u32 s0, 0
	v_add_f32_e32 v1, v3, v1
	s_delay_alu instid0(VALU_DEP_1) | instskip(SKIP_1) | instid1(VALU_DEP_1)
	v_add_f32_e32 v1, v4, v1
	s_waitcnt vmcnt(0)
	v_add_f32_e32 v1, v5, v1
	s_delay_alu instid0(VALU_DEP_1) | instskip(NEXT) | instid1(VALU_DEP_1)
	v_add_f32_e32 v1, v6, v1
	v_add_f32_e32 v1, v7, v1
	s_delay_alu instid0(VALU_DEP_1)
	v_add_f32_e32 v1, v8, v1
	ds_store_b32 v9, v1
	s_waitcnt lgkmcnt(0)
	s_barrier
	buffer_gl0_inv
	ds_load_b64 v[12:13], v11
	s_waitcnt lgkmcnt(0)
	v_add_f32_e32 v1, v12, v13
	s_delay_alu instid0(VALU_DEP_1) | instskip(NEXT) | instid1(VALU_DEP_1)
	v_mov_b32_dpp v12, v1 quad_perm:[1,0,3,2] row_mask:0xf bank_mask:0xf
	v_add_f32_e32 v1, v1, v12
	s_delay_alu instid0(VALU_DEP_1) | instskip(NEXT) | instid1(VALU_DEP_1)
	v_mov_b32_dpp v12, v1 quad_perm:[2,3,0,1] row_mask:0xf bank_mask:0xf
	v_add_f32_e32 v1, v1, v12
	s_delay_alu instid0(VALU_DEP_1) | instskip(NEXT) | instid1(VALU_DEP_1)
	v_mov_b32_dpp v12, v1 row_ror:4 row_mask:0xf bank_mask:0xf
	v_add_f32_e32 v1, v1, v12
	s_delay_alu instid0(VALU_DEP_1) | instskip(NEXT) | instid1(VALU_DEP_1)
	v_mov_b32_dpp v12, v1 row_ror:8 row_mask:0xf bank_mask:0xf
	v_add_f32_e32 v1, v1, v12
	ds_swizzle_b32 v12, v1 offset:swizzle(BROADCAST,32,15)
	s_waitcnt lgkmcnt(0)
	v_add_f32_e32 v1, v1, v12
	ds_bpermute_b32 v1, v10, v1
	s_cbranch_scc0 .LBB81_1
; %bb.2:
	s_set_inst_prefetch_distance 0x2
	s_mov_b32 s5, 0
	s_mov_b32 s0, exec_lo
	v_cmpx_eq_u32_e32 0, v0
	s_cbranch_execz .LBB81_4
; %bb.3:
	s_lshl_b64 s[0:1], s[4:5], 2
	v_mov_b32_e32 v0, 0
	s_add_u32 s0, s2, s0
	s_addc_u32 s1, s3, s1
	s_waitcnt lgkmcnt(0)
	global_store_b32 v0, v1, s[0:1]
.LBB81_4:
	s_nop 0
	s_sendmsg sendmsg(MSG_DEALLOC_VGPRS)
	s_endpgm
	.section	.rodata,"a",@progbits
	.p2align	6, 0x0
	.amdhsa_kernel _Z6kernelI6reduceILN6hipcub20BlockReduceAlgorithmE1EEfLj64ELj8ELj100EEvPKT0_PS4_
		.amdhsa_group_segment_fixed_size 256
		.amdhsa_private_segment_fixed_size 0
		.amdhsa_kernarg_size 272
		.amdhsa_user_sgpr_count 15
		.amdhsa_user_sgpr_dispatch_ptr 0
		.amdhsa_user_sgpr_queue_ptr 0
		.amdhsa_user_sgpr_kernarg_segment_ptr 1
		.amdhsa_user_sgpr_dispatch_id 0
		.amdhsa_user_sgpr_private_segment_size 0
		.amdhsa_wavefront_size32 1
		.amdhsa_uses_dynamic_stack 0
		.amdhsa_enable_private_segment 0
		.amdhsa_system_sgpr_workgroup_id_x 1
		.amdhsa_system_sgpr_workgroup_id_y 0
		.amdhsa_system_sgpr_workgroup_id_z 0
		.amdhsa_system_sgpr_workgroup_info 0
		.amdhsa_system_vgpr_workitem_id 0
		.amdhsa_next_free_vgpr 14
		.amdhsa_next_free_sgpr 16
		.amdhsa_reserve_vcc 1
		.amdhsa_float_round_mode_32 0
		.amdhsa_float_round_mode_16_64 0
		.amdhsa_float_denorm_mode_32 3
		.amdhsa_float_denorm_mode_16_64 3
		.amdhsa_dx10_clamp 1
		.amdhsa_ieee_mode 1
		.amdhsa_fp16_overflow 0
		.amdhsa_workgroup_processor_mode 1
		.amdhsa_memory_ordered 1
		.amdhsa_forward_progress 0
		.amdhsa_shared_vgpr_count 0
		.amdhsa_exception_fp_ieee_invalid_op 0
		.amdhsa_exception_fp_denorm_src 0
		.amdhsa_exception_fp_ieee_div_zero 0
		.amdhsa_exception_fp_ieee_overflow 0
		.amdhsa_exception_fp_ieee_underflow 0
		.amdhsa_exception_fp_ieee_inexact 0
		.amdhsa_exception_int_div_zero 0
	.end_amdhsa_kernel
	.section	.text._Z6kernelI6reduceILN6hipcub20BlockReduceAlgorithmE1EEfLj64ELj8ELj100EEvPKT0_PS4_,"axG",@progbits,_Z6kernelI6reduceILN6hipcub20BlockReduceAlgorithmE1EEfLj64ELj8ELj100EEvPKT0_PS4_,comdat
.Lfunc_end81:
	.size	_Z6kernelI6reduceILN6hipcub20BlockReduceAlgorithmE1EEfLj64ELj8ELj100EEvPKT0_PS4_, .Lfunc_end81-_Z6kernelI6reduceILN6hipcub20BlockReduceAlgorithmE1EEfLj64ELj8ELj100EEvPKT0_PS4_
                                        ; -- End function
	.section	.AMDGPU.csdata,"",@progbits
; Kernel info:
; codeLenInByte = 380
; NumSgprs: 18
; NumVgprs: 14
; ScratchSize: 0
; MemoryBound: 0
; FloatMode: 240
; IeeeMode: 1
; LDSByteSize: 256 bytes/workgroup (compile time only)
; SGPRBlocks: 2
; VGPRBlocks: 1
; NumSGPRsForWavesPerEU: 18
; NumVGPRsForWavesPerEU: 14
; Occupancy: 16
; WaveLimiterHint : 0
; COMPUTE_PGM_RSRC2:SCRATCH_EN: 0
; COMPUTE_PGM_RSRC2:USER_SGPR: 15
; COMPUTE_PGM_RSRC2:TRAP_HANDLER: 0
; COMPUTE_PGM_RSRC2:TGID_X_EN: 1
; COMPUTE_PGM_RSRC2:TGID_Y_EN: 0
; COMPUTE_PGM_RSRC2:TGID_Z_EN: 0
; COMPUTE_PGM_RSRC2:TIDIG_COMP_CNT: 0
	.section	.text._Z6kernelI6reduceILN6hipcub20BlockReduceAlgorithmE1EEfLj64ELj11ELj100EEvPKT0_PS4_,"axG",@progbits,_Z6kernelI6reduceILN6hipcub20BlockReduceAlgorithmE1EEfLj64ELj11ELj100EEvPKT0_PS4_,comdat
	.protected	_Z6kernelI6reduceILN6hipcub20BlockReduceAlgorithmE1EEfLj64ELj11ELj100EEvPKT0_PS4_ ; -- Begin function _Z6kernelI6reduceILN6hipcub20BlockReduceAlgorithmE1EEfLj64ELj11ELj100EEvPKT0_PS4_
	.globl	_Z6kernelI6reduceILN6hipcub20BlockReduceAlgorithmE1EEfLj64ELj11ELj100EEvPKT0_PS4_
	.p2align	8
	.type	_Z6kernelI6reduceILN6hipcub20BlockReduceAlgorithmE1EEfLj64ELj11ELj100EEvPKT0_PS4_,@function
_Z6kernelI6reduceILN6hipcub20BlockReduceAlgorithmE1EEfLj64ELj11ELj100EEvPKT0_PS4_: ; @_Z6kernelI6reduceILN6hipcub20BlockReduceAlgorithmE1EEfLj64ELj11ELj100EEvPKT0_PS4_
; %bb.0:
	s_load_b32 s2, s[0:1], 0x1c
	s_mov_b32 s4, s15
	s_waitcnt lgkmcnt(0)
	s_and_b32 s2, s2, 0xffff
	s_delay_alu instid0(SALU_CYCLE_1) | instskip(SKIP_1) | instid1(VALU_DEP_1)
	v_mad_u64_u32 v[1:2], null, s4, s2, v[0:1]
	s_load_b128 s[0:3], s[0:1], 0x0
	v_mul_lo_u32 v1, v1, 11
	s_delay_alu instid0(VALU_DEP_1) | instskip(NEXT) | instid1(VALU_DEP_1)
	v_dual_mov_b32 v2, 0 :: v_dual_add_nc_u32 v3, 1, v1
	v_dual_mov_b32 v4, v2 :: v_dual_add_nc_u32 v5, 2, v1
	v_lshlrev_b64 v[17:18], 2, v[1:2]
	v_dual_mov_b32 v6, v2 :: v_dual_add_nc_u32 v7, 3, v1
	s_delay_alu instid0(VALU_DEP_3) | instskip(SKIP_1) | instid1(VALU_DEP_3)
	v_lshlrev_b64 v[3:4], 2, v[3:4]
	v_dual_mov_b32 v8, v2 :: v_dual_add_nc_u32 v9, 4, v1
	v_lshlrev_b64 v[5:6], 2, v[5:6]
	s_waitcnt lgkmcnt(0)
	v_add_co_u32 v17, vcc_lo, s0, v17
	v_dual_mov_b32 v10, v2 :: v_dual_add_nc_u32 v11, 5, v1
	v_add_co_ci_u32_e32 v18, vcc_lo, s1, v18, vcc_lo
	v_lshlrev_b64 v[7:8], 2, v[7:8]
	v_add_co_u32 v3, vcc_lo, s0, v3
	v_dual_mov_b32 v12, v2 :: v_dual_add_nc_u32 v13, 6, v1
	v_add_co_ci_u32_e32 v4, vcc_lo, s1, v4, vcc_lo
	v_lshlrev_b64 v[9:10], 2, v[9:10]
	;; [unrolled: 4-line block ×3, first 2 shown]
	v_add_co_u32 v7, vcc_lo, s0, v7
	v_mov_b32_e32 v16, v2
	v_add_co_ci_u32_e32 v8, vcc_lo, s1, v8, vcc_lo
	v_lshlrev_b64 v[13:14], 2, v[13:14]
	v_add_co_u32 v9, vcc_lo, s0, v9
	v_add_co_ci_u32_e32 v10, vcc_lo, s1, v10, vcc_lo
	v_add_co_u32 v11, vcc_lo, s0, v11
	v_lshlrev_b64 v[5:6], 2, v[15:16]
	v_add_nc_u32_e32 v15, 8, v1
	v_add_co_ci_u32_e32 v12, vcc_lo, s1, v12, vcc_lo
	v_add_co_u32 v13, vcc_lo, s0, v13
	v_dual_mov_b32 v22, v2 :: v_dual_add_nc_u32 v21, 9, v1
	v_add_co_ci_u32_e32 v14, vcc_lo, s1, v14, vcc_lo
	v_lshlrev_b64 v[15:16], 2, v[15:16]
	v_add_co_u32 v23, vcc_lo, s0, v5
	v_add_nc_u32_e32 v1, 10, v1
	v_add_co_ci_u32_e32 v24, vcc_lo, s1, v6, vcc_lo
	v_lshlrev_b64 v[5:6], 2, v[21:22]
	v_add_co_u32 v15, vcc_lo, s0, v15
	s_delay_alu instid0(VALU_DEP_4) | instskip(SKIP_1) | instid1(VALU_DEP_4)
	v_lshlrev_b64 v[1:2], 2, v[1:2]
	v_add_co_ci_u32_e32 v16, vcc_lo, s1, v16, vcc_lo
	v_add_co_u32 v21, vcc_lo, s0, v5
	v_add_co_ci_u32_e32 v22, vcc_lo, s1, v6, vcc_lo
	s_delay_alu instid0(VALU_DEP_4)
	v_add_co_u32 v25, vcc_lo, s0, v1
	v_add_co_ci_u32_e32 v26, vcc_lo, s1, v2, vcc_lo
	s_clause 0xa
	global_load_b32 v6, v[17:18], off
	global_load_b32 v1, v[3:4], off
	;; [unrolled: 1-line block ×11, first 2 shown]
	v_dual_mov_b32 v13, 0x7c :: v_dual_lshlrev_b32 v12, 2, v0
	s_movk_i32 s0, 0x64
	s_delay_alu instid0(VALU_DEP_1)
	v_add_nc_u32_e32 v14, v12, v12
	s_set_inst_prefetch_distance 0x1
	.p2align	6
.LBB82_1:                               ; =>This Inner Loop Header: Depth=1
	s_waitcnt vmcnt(9) lgkmcnt(0)
	v_add_f32_e32 v6, v1, v6
	s_add_i32 s0, s0, -1
	s_delay_alu instid0(SALU_CYCLE_1) | instskip(SKIP_1) | instid1(VALU_DEP_1)
	s_cmp_eq_u32 s0, 0
	s_waitcnt vmcnt(8)
	v_add_f32_e32 v6, v2, v6
	s_waitcnt vmcnt(7)
	s_delay_alu instid0(VALU_DEP_1) | instskip(SKIP_1) | instid1(VALU_DEP_1)
	v_add_f32_e32 v6, v3, v6
	s_waitcnt vmcnt(6)
	v_add_f32_e32 v6, v4, v6
	s_waitcnt vmcnt(5)
	s_delay_alu instid0(VALU_DEP_1) | instskip(SKIP_1) | instid1(VALU_DEP_1)
	v_add_f32_e32 v6, v5, v6
	;; [unrolled: 5-line block ×4, first 2 shown]
	s_waitcnt vmcnt(0)
	v_add_f32_e32 v6, v11, v6
	ds_store_b32 v12, v6
	s_waitcnt lgkmcnt(0)
	s_barrier
	buffer_gl0_inv
	ds_load_b64 v[15:16], v14
	s_waitcnt lgkmcnt(0)
	v_add_f32_e32 v6, v15, v16
	s_delay_alu instid0(VALU_DEP_1) | instskip(NEXT) | instid1(VALU_DEP_1)
	v_mov_b32_dpp v15, v6 quad_perm:[1,0,3,2] row_mask:0xf bank_mask:0xf
	v_add_f32_e32 v6, v6, v15
	s_delay_alu instid0(VALU_DEP_1) | instskip(NEXT) | instid1(VALU_DEP_1)
	v_mov_b32_dpp v15, v6 quad_perm:[2,3,0,1] row_mask:0xf bank_mask:0xf
	v_add_f32_e32 v6, v6, v15
	s_delay_alu instid0(VALU_DEP_1) | instskip(NEXT) | instid1(VALU_DEP_1)
	v_mov_b32_dpp v15, v6 row_ror:4 row_mask:0xf bank_mask:0xf
	v_add_f32_e32 v6, v6, v15
	s_delay_alu instid0(VALU_DEP_1) | instskip(NEXT) | instid1(VALU_DEP_1)
	v_mov_b32_dpp v15, v6 row_ror:8 row_mask:0xf bank_mask:0xf
	v_add_f32_e32 v6, v6, v15
	ds_swizzle_b32 v15, v6 offset:swizzle(BROADCAST,32,15)
	s_waitcnt lgkmcnt(0)
	v_add_f32_e32 v6, v6, v15
	ds_bpermute_b32 v6, v13, v6
	s_cbranch_scc0 .LBB82_1
; %bb.2:
	s_set_inst_prefetch_distance 0x2
	s_mov_b32 s5, 0
	s_mov_b32 s0, exec_lo
	v_cmpx_eq_u32_e32 0, v0
	s_cbranch_execz .LBB82_4
; %bb.3:
	s_lshl_b64 s[0:1], s[4:5], 2
	v_mov_b32_e32 v0, 0
	s_add_u32 s0, s2, s0
	s_addc_u32 s1, s3, s1
	s_waitcnt lgkmcnt(0)
	global_store_b32 v0, v6, s[0:1]
.LBB82_4:
	s_nop 0
	s_sendmsg sendmsg(MSG_DEALLOC_VGPRS)
	s_endpgm
	.section	.rodata,"a",@progbits
	.p2align	6, 0x0
	.amdhsa_kernel _Z6kernelI6reduceILN6hipcub20BlockReduceAlgorithmE1EEfLj64ELj11ELj100EEvPKT0_PS4_
		.amdhsa_group_segment_fixed_size 256
		.amdhsa_private_segment_fixed_size 0
		.amdhsa_kernarg_size 272
		.amdhsa_user_sgpr_count 15
		.amdhsa_user_sgpr_dispatch_ptr 0
		.amdhsa_user_sgpr_queue_ptr 0
		.amdhsa_user_sgpr_kernarg_segment_ptr 1
		.amdhsa_user_sgpr_dispatch_id 0
		.amdhsa_user_sgpr_private_segment_size 0
		.amdhsa_wavefront_size32 1
		.amdhsa_uses_dynamic_stack 0
		.amdhsa_enable_private_segment 0
		.amdhsa_system_sgpr_workgroup_id_x 1
		.amdhsa_system_sgpr_workgroup_id_y 0
		.amdhsa_system_sgpr_workgroup_id_z 0
		.amdhsa_system_sgpr_workgroup_info 0
		.amdhsa_system_vgpr_workitem_id 0
		.amdhsa_next_free_vgpr 27
		.amdhsa_next_free_sgpr 16
		.amdhsa_reserve_vcc 1
		.amdhsa_float_round_mode_32 0
		.amdhsa_float_round_mode_16_64 0
		.amdhsa_float_denorm_mode_32 3
		.amdhsa_float_denorm_mode_16_64 3
		.amdhsa_dx10_clamp 1
		.amdhsa_ieee_mode 1
		.amdhsa_fp16_overflow 0
		.amdhsa_workgroup_processor_mode 1
		.amdhsa_memory_ordered 1
		.amdhsa_forward_progress 0
		.amdhsa_shared_vgpr_count 0
		.amdhsa_exception_fp_ieee_invalid_op 0
		.amdhsa_exception_fp_denorm_src 0
		.amdhsa_exception_fp_ieee_div_zero 0
		.amdhsa_exception_fp_ieee_overflow 0
		.amdhsa_exception_fp_ieee_underflow 0
		.amdhsa_exception_fp_ieee_inexact 0
		.amdhsa_exception_int_div_zero 0
	.end_amdhsa_kernel
	.section	.text._Z6kernelI6reduceILN6hipcub20BlockReduceAlgorithmE1EEfLj64ELj11ELj100EEvPKT0_PS4_,"axG",@progbits,_Z6kernelI6reduceILN6hipcub20BlockReduceAlgorithmE1EEfLj64ELj11ELj100EEvPKT0_PS4_,comdat
.Lfunc_end82:
	.size	_Z6kernelI6reduceILN6hipcub20BlockReduceAlgorithmE1EEfLj64ELj11ELj100EEvPKT0_PS4_, .Lfunc_end82-_Z6kernelI6reduceILN6hipcub20BlockReduceAlgorithmE1EEfLj64ELj11ELj100EEvPKT0_PS4_
                                        ; -- End function
	.section	.AMDGPU.csdata,"",@progbits
; Kernel info:
; codeLenInByte = 788
; NumSgprs: 18
; NumVgprs: 27
; ScratchSize: 0
; MemoryBound: 0
; FloatMode: 240
; IeeeMode: 1
; LDSByteSize: 256 bytes/workgroup (compile time only)
; SGPRBlocks: 2
; VGPRBlocks: 3
; NumSGPRsForWavesPerEU: 18
; NumVGPRsForWavesPerEU: 27
; Occupancy: 16
; WaveLimiterHint : 0
; COMPUTE_PGM_RSRC2:SCRATCH_EN: 0
; COMPUTE_PGM_RSRC2:USER_SGPR: 15
; COMPUTE_PGM_RSRC2:TRAP_HANDLER: 0
; COMPUTE_PGM_RSRC2:TGID_X_EN: 1
; COMPUTE_PGM_RSRC2:TGID_Y_EN: 0
; COMPUTE_PGM_RSRC2:TGID_Z_EN: 0
; COMPUTE_PGM_RSRC2:TIDIG_COMP_CNT: 0
	.section	.text._Z6kernelI6reduceILN6hipcub20BlockReduceAlgorithmE1EEfLj64ELj16ELj100EEvPKT0_PS4_,"axG",@progbits,_Z6kernelI6reduceILN6hipcub20BlockReduceAlgorithmE1EEfLj64ELj16ELj100EEvPKT0_PS4_,comdat
	.protected	_Z6kernelI6reduceILN6hipcub20BlockReduceAlgorithmE1EEfLj64ELj16ELj100EEvPKT0_PS4_ ; -- Begin function _Z6kernelI6reduceILN6hipcub20BlockReduceAlgorithmE1EEfLj64ELj16ELj100EEvPKT0_PS4_
	.globl	_Z6kernelI6reduceILN6hipcub20BlockReduceAlgorithmE1EEfLj64ELj16ELj100EEvPKT0_PS4_
	.p2align	8
	.type	_Z6kernelI6reduceILN6hipcub20BlockReduceAlgorithmE1EEfLj64ELj16ELj100EEvPKT0_PS4_,@function
_Z6kernelI6reduceILN6hipcub20BlockReduceAlgorithmE1EEfLj64ELj16ELj100EEvPKT0_PS4_: ; @_Z6kernelI6reduceILN6hipcub20BlockReduceAlgorithmE1EEfLj64ELj16ELj100EEvPKT0_PS4_
; %bb.0:
	s_clause 0x1
	s_load_b32 s5, s[0:1], 0x1c
	s_load_b128 s[0:3], s[0:1], 0x0
	v_dual_mov_b32 v2, 0 :: v_dual_lshlrev_b32 v17, 2, v0
	v_mov_b32_e32 v18, 0x7c
	s_mov_b32 s4, s15
	s_delay_alu instid0(VALU_DEP_2) | instskip(SKIP_2) | instid1(SALU_CYCLE_1)
	v_add_nc_u32_e32 v19, v17, v17
	s_waitcnt lgkmcnt(0)
	s_and_b32 s5, s5, 0xffff
	s_mul_i32 s5, s15, s5
	s_delay_alu instid0(SALU_CYCLE_1) | instskip(NEXT) | instid1(VALU_DEP_1)
	v_add_lshl_u32 v1, s5, v0, 4
	v_lshlrev_b64 v[1:2], 2, v[1:2]
	s_delay_alu instid0(VALU_DEP_1) | instskip(NEXT) | instid1(VALU_DEP_2)
	v_add_co_u32 v13, vcc_lo, s0, v1
	v_add_co_ci_u32_e32 v14, vcc_lo, s1, v2, vcc_lo
	s_movk_i32 s0, 0x64
	s_clause 0x3
	global_load_b128 v[1:4], v[13:14], off
	global_load_b128 v[5:8], v[13:14], off offset:16
	global_load_b128 v[9:12], v[13:14], off offset:32
	;; [unrolled: 1-line block ×3, first 2 shown]
	s_set_inst_prefetch_distance 0x1
	.p2align	6
.LBB83_1:                               ; =>This Inner Loop Header: Depth=1
	s_waitcnt vmcnt(3) lgkmcnt(0)
	v_add_f32_e32 v1, v2, v1
	s_add_i32 s0, s0, -1
	s_delay_alu instid0(SALU_CYCLE_1) | instskip(NEXT) | instid1(VALU_DEP_1)
	s_cmp_eq_u32 s0, 0
	v_add_f32_e32 v1, v3, v1
	s_delay_alu instid0(VALU_DEP_1) | instskip(SKIP_1) | instid1(VALU_DEP_1)
	v_add_f32_e32 v1, v4, v1
	s_waitcnt vmcnt(2)
	v_add_f32_e32 v1, v5, v1
	s_delay_alu instid0(VALU_DEP_1) | instskip(NEXT) | instid1(VALU_DEP_1)
	v_add_f32_e32 v1, v6, v1
	v_add_f32_e32 v1, v7, v1
	s_delay_alu instid0(VALU_DEP_1) | instskip(SKIP_1) | instid1(VALU_DEP_1)
	v_add_f32_e32 v1, v8, v1
	s_waitcnt vmcnt(1)
	v_add_f32_e32 v1, v9, v1
	s_delay_alu instid0(VALU_DEP_1) | instskip(NEXT) | instid1(VALU_DEP_1)
	v_add_f32_e32 v1, v10, v1
	;; [unrolled: 7-line block ×3, first 2 shown]
	v_add_f32_e32 v1, v15, v1
	s_delay_alu instid0(VALU_DEP_1)
	v_add_f32_e32 v1, v16, v1
	ds_store_b32 v17, v1
	s_waitcnt lgkmcnt(0)
	s_barrier
	buffer_gl0_inv
	ds_load_b64 v[20:21], v19
	s_waitcnt lgkmcnt(0)
	v_add_f32_e32 v1, v20, v21
	s_delay_alu instid0(VALU_DEP_1) | instskip(NEXT) | instid1(VALU_DEP_1)
	v_mov_b32_dpp v20, v1 quad_perm:[1,0,3,2] row_mask:0xf bank_mask:0xf
	v_add_f32_e32 v1, v1, v20
	s_delay_alu instid0(VALU_DEP_1) | instskip(NEXT) | instid1(VALU_DEP_1)
	v_mov_b32_dpp v20, v1 quad_perm:[2,3,0,1] row_mask:0xf bank_mask:0xf
	v_add_f32_e32 v1, v1, v20
	s_delay_alu instid0(VALU_DEP_1) | instskip(NEXT) | instid1(VALU_DEP_1)
	v_mov_b32_dpp v20, v1 row_ror:4 row_mask:0xf bank_mask:0xf
	v_add_f32_e32 v1, v1, v20
	s_delay_alu instid0(VALU_DEP_1) | instskip(NEXT) | instid1(VALU_DEP_1)
	v_mov_b32_dpp v20, v1 row_ror:8 row_mask:0xf bank_mask:0xf
	v_add_f32_e32 v1, v1, v20
	ds_swizzle_b32 v20, v1 offset:swizzle(BROADCAST,32,15)
	s_waitcnt lgkmcnt(0)
	v_add_f32_e32 v1, v1, v20
	ds_bpermute_b32 v1, v18, v1
	s_cbranch_scc0 .LBB83_1
; %bb.2:
	s_set_inst_prefetch_distance 0x2
	s_mov_b32 s5, 0
	s_mov_b32 s0, exec_lo
	v_cmpx_eq_u32_e32 0, v0
	s_cbranch_execz .LBB83_4
; %bb.3:
	s_lshl_b64 s[0:1], s[4:5], 2
	v_mov_b32_e32 v0, 0
	s_add_u32 s0, s2, s0
	s_addc_u32 s1, s3, s1
	s_waitcnt lgkmcnt(0)
	global_store_b32 v0, v1, s[0:1]
.LBB83_4:
	s_nop 0
	s_sendmsg sendmsg(MSG_DEALLOC_VGPRS)
	s_endpgm
	.section	.rodata,"a",@progbits
	.p2align	6, 0x0
	.amdhsa_kernel _Z6kernelI6reduceILN6hipcub20BlockReduceAlgorithmE1EEfLj64ELj16ELj100EEvPKT0_PS4_
		.amdhsa_group_segment_fixed_size 256
		.amdhsa_private_segment_fixed_size 0
		.amdhsa_kernarg_size 272
		.amdhsa_user_sgpr_count 15
		.amdhsa_user_sgpr_dispatch_ptr 0
		.amdhsa_user_sgpr_queue_ptr 0
		.amdhsa_user_sgpr_kernarg_segment_ptr 1
		.amdhsa_user_sgpr_dispatch_id 0
		.amdhsa_user_sgpr_private_segment_size 0
		.amdhsa_wavefront_size32 1
		.amdhsa_uses_dynamic_stack 0
		.amdhsa_enable_private_segment 0
		.amdhsa_system_sgpr_workgroup_id_x 1
		.amdhsa_system_sgpr_workgroup_id_y 0
		.amdhsa_system_sgpr_workgroup_id_z 0
		.amdhsa_system_sgpr_workgroup_info 0
		.amdhsa_system_vgpr_workitem_id 0
		.amdhsa_next_free_vgpr 22
		.amdhsa_next_free_sgpr 16
		.amdhsa_reserve_vcc 1
		.amdhsa_float_round_mode_32 0
		.amdhsa_float_round_mode_16_64 0
		.amdhsa_float_denorm_mode_32 3
		.amdhsa_float_denorm_mode_16_64 3
		.amdhsa_dx10_clamp 1
		.amdhsa_ieee_mode 1
		.amdhsa_fp16_overflow 0
		.amdhsa_workgroup_processor_mode 1
		.amdhsa_memory_ordered 1
		.amdhsa_forward_progress 0
		.amdhsa_shared_vgpr_count 0
		.amdhsa_exception_fp_ieee_invalid_op 0
		.amdhsa_exception_fp_denorm_src 0
		.amdhsa_exception_fp_ieee_div_zero 0
		.amdhsa_exception_fp_ieee_overflow 0
		.amdhsa_exception_fp_ieee_underflow 0
		.amdhsa_exception_fp_ieee_inexact 0
		.amdhsa_exception_int_div_zero 0
	.end_amdhsa_kernel
	.section	.text._Z6kernelI6reduceILN6hipcub20BlockReduceAlgorithmE1EEfLj64ELj16ELj100EEvPKT0_PS4_,"axG",@progbits,_Z6kernelI6reduceILN6hipcub20BlockReduceAlgorithmE1EEfLj64ELj16ELj100EEvPKT0_PS4_,comdat
.Lfunc_end83:
	.size	_Z6kernelI6reduceILN6hipcub20BlockReduceAlgorithmE1EEfLj64ELj16ELj100EEvPKT0_PS4_, .Lfunc_end83-_Z6kernelI6reduceILN6hipcub20BlockReduceAlgorithmE1EEfLj64ELj16ELj100EEvPKT0_PS4_
                                        ; -- End function
	.section	.AMDGPU.csdata,"",@progbits
; Kernel info:
; codeLenInByte = 452
; NumSgprs: 18
; NumVgprs: 22
; ScratchSize: 0
; MemoryBound: 0
; FloatMode: 240
; IeeeMode: 1
; LDSByteSize: 256 bytes/workgroup (compile time only)
; SGPRBlocks: 2
; VGPRBlocks: 2
; NumSGPRsForWavesPerEU: 18
; NumVGPRsForWavesPerEU: 22
; Occupancy: 16
; WaveLimiterHint : 0
; COMPUTE_PGM_RSRC2:SCRATCH_EN: 0
; COMPUTE_PGM_RSRC2:USER_SGPR: 15
; COMPUTE_PGM_RSRC2:TRAP_HANDLER: 0
; COMPUTE_PGM_RSRC2:TGID_X_EN: 1
; COMPUTE_PGM_RSRC2:TGID_Y_EN: 0
; COMPUTE_PGM_RSRC2:TGID_Z_EN: 0
; COMPUTE_PGM_RSRC2:TIDIG_COMP_CNT: 0
	.section	.text._Z6kernelI6reduceILN6hipcub20BlockReduceAlgorithmE1EEdLj64ELj1ELj100EEvPKT0_PS4_,"axG",@progbits,_Z6kernelI6reduceILN6hipcub20BlockReduceAlgorithmE1EEdLj64ELj1ELj100EEvPKT0_PS4_,comdat
	.protected	_Z6kernelI6reduceILN6hipcub20BlockReduceAlgorithmE1EEdLj64ELj1ELj100EEvPKT0_PS4_ ; -- Begin function _Z6kernelI6reduceILN6hipcub20BlockReduceAlgorithmE1EEdLj64ELj1ELj100EEvPKT0_PS4_
	.globl	_Z6kernelI6reduceILN6hipcub20BlockReduceAlgorithmE1EEdLj64ELj1ELj100EEvPKT0_PS4_
	.p2align	8
	.type	_Z6kernelI6reduceILN6hipcub20BlockReduceAlgorithmE1EEdLj64ELj1ELj100EEvPKT0_PS4_,@function
_Z6kernelI6reduceILN6hipcub20BlockReduceAlgorithmE1EEdLj64ELj1ELj100EEvPKT0_PS4_: ; @_Z6kernelI6reduceILN6hipcub20BlockReduceAlgorithmE1EEdLj64ELj1ELj100EEvPKT0_PS4_
; %bb.0:
	s_clause 0x1
	s_load_b32 s5, s[0:1], 0x1c
	s_load_b128 s[0:3], s[0:1], 0x0
	s_mov_b32 s4, s15
	v_dual_mov_b32 v4, 0x7c :: v_dual_lshlrev_b32 v3, 2, v0
	s_delay_alu instid0(VALU_DEP_1) | instskip(SKIP_2) | instid1(SALU_CYCLE_1)
	v_add_nc_u32_e32 v5, v3, v3
	s_waitcnt lgkmcnt(0)
	s_and_b32 s5, s5, 0xffff
	v_mad_u64_u32 v[1:2], null, s4, s5, v[0:1]
	v_mov_b32_e32 v2, 0
	s_delay_alu instid0(VALU_DEP_1) | instskip(NEXT) | instid1(VALU_DEP_1)
	v_lshlrev_b64 v[1:2], 3, v[1:2]
	v_add_co_u32 v1, vcc_lo, s0, v1
	s_delay_alu instid0(VALU_DEP_2)
	v_add_co_ci_u32_e32 v2, vcc_lo, s1, v2, vcc_lo
	s_movk_i32 s0, 0x64
	global_load_b64 v[1:2], v[1:2], off
	s_set_inst_prefetch_distance 0x1
	.p2align	6
.LBB84_1:                               ; =>This Inner Loop Header: Depth=1
	s_waitcnt vmcnt(0) lgkmcnt(0)
	ds_store_2addr_stride64_b32 v3, v1, v2 offset1:1
	s_waitcnt lgkmcnt(0)
	s_barrier
	buffer_gl0_inv
	ds_load_2addr_b64 v[6:9], v5 offset1:32
	s_add_i32 s0, s0, -1
	s_delay_alu instid0(SALU_CYCLE_1) | instskip(SKIP_3) | instid1(VALU_DEP_1)
	s_cmp_eq_u32 s0, 0
	s_waitcnt lgkmcnt(0)
	v_dual_mov_b32 v1, v6 :: v_dual_mov_b32 v2, v8
	v_mov_b32_e32 v8, v9
	v_add_f64 v[1:2], v[1:2], v[7:8]
	s_delay_alu instid0(VALU_DEP_1) | instskip(NEXT) | instid1(VALU_DEP_2)
	v_mov_b32_dpp v6, v1 quad_perm:[1,0,3,2] row_mask:0xf bank_mask:0xf
	v_mov_b32_dpp v7, v2 quad_perm:[1,0,3,2] row_mask:0xf bank_mask:0xf
	s_delay_alu instid0(VALU_DEP_1) | instskip(NEXT) | instid1(VALU_DEP_1)
	v_add_f64 v[1:2], v[1:2], v[6:7]
	v_mov_b32_dpp v6, v1 quad_perm:[2,3,0,1] row_mask:0xf bank_mask:0xf
	s_delay_alu instid0(VALU_DEP_2) | instskip(NEXT) | instid1(VALU_DEP_1)
	v_mov_b32_dpp v7, v2 quad_perm:[2,3,0,1] row_mask:0xf bank_mask:0xf
	v_add_f64 v[1:2], v[1:2], v[6:7]
	s_delay_alu instid0(VALU_DEP_1) | instskip(NEXT) | instid1(VALU_DEP_2)
	v_mov_b32_dpp v6, v1 row_ror:4 row_mask:0xf bank_mask:0xf
	v_mov_b32_dpp v7, v2 row_ror:4 row_mask:0xf bank_mask:0xf
	s_delay_alu instid0(VALU_DEP_1) | instskip(NEXT) | instid1(VALU_DEP_1)
	v_add_f64 v[1:2], v[1:2], v[6:7]
	v_mov_b32_dpp v6, v1 row_ror:8 row_mask:0xf bank_mask:0xf
	s_delay_alu instid0(VALU_DEP_2) | instskip(NEXT) | instid1(VALU_DEP_1)
	v_mov_b32_dpp v7, v2 row_ror:8 row_mask:0xf bank_mask:0xf
	v_add_f64 v[1:2], v[1:2], v[6:7]
	ds_swizzle_b32 v6, v1 offset:swizzle(BROADCAST,32,15)
	ds_swizzle_b32 v7, v2 offset:swizzle(BROADCAST,32,15)
	s_waitcnt lgkmcnt(0)
	v_add_f64 v[1:2], v[1:2], v[6:7]
	ds_bpermute_b32 v1, v4, v1
	ds_bpermute_b32 v2, v4, v2
	s_cbranch_scc0 .LBB84_1
; %bb.2:
	s_set_inst_prefetch_distance 0x2
	s_mov_b32 s5, 0
	s_mov_b32 s0, exec_lo
	v_cmpx_eq_u32_e32 0, v0
	s_cbranch_execz .LBB84_4
; %bb.3:
	s_lshl_b64 s[0:1], s[4:5], 3
	v_mov_b32_e32 v0, 0
	s_add_u32 s0, s2, s0
	s_addc_u32 s1, s3, s1
	s_waitcnt lgkmcnt(0)
	global_store_b64 v0, v[1:2], s[0:1]
.LBB84_4:
	s_nop 0
	s_sendmsg sendmsg(MSG_DEALLOC_VGPRS)
	s_endpgm
	.section	.rodata,"a",@progbits
	.p2align	6, 0x0
	.amdhsa_kernel _Z6kernelI6reduceILN6hipcub20BlockReduceAlgorithmE1EEdLj64ELj1ELj100EEvPKT0_PS4_
		.amdhsa_group_segment_fixed_size 512
		.amdhsa_private_segment_fixed_size 0
		.amdhsa_kernarg_size 272
		.amdhsa_user_sgpr_count 15
		.amdhsa_user_sgpr_dispatch_ptr 0
		.amdhsa_user_sgpr_queue_ptr 0
		.amdhsa_user_sgpr_kernarg_segment_ptr 1
		.amdhsa_user_sgpr_dispatch_id 0
		.amdhsa_user_sgpr_private_segment_size 0
		.amdhsa_wavefront_size32 1
		.amdhsa_uses_dynamic_stack 0
		.amdhsa_enable_private_segment 0
		.amdhsa_system_sgpr_workgroup_id_x 1
		.amdhsa_system_sgpr_workgroup_id_y 0
		.amdhsa_system_sgpr_workgroup_id_z 0
		.amdhsa_system_sgpr_workgroup_info 0
		.amdhsa_system_vgpr_workitem_id 0
		.amdhsa_next_free_vgpr 10
		.amdhsa_next_free_sgpr 16
		.amdhsa_reserve_vcc 1
		.amdhsa_float_round_mode_32 0
		.amdhsa_float_round_mode_16_64 0
		.amdhsa_float_denorm_mode_32 3
		.amdhsa_float_denorm_mode_16_64 3
		.amdhsa_dx10_clamp 1
		.amdhsa_ieee_mode 1
		.amdhsa_fp16_overflow 0
		.amdhsa_workgroup_processor_mode 1
		.amdhsa_memory_ordered 1
		.amdhsa_forward_progress 0
		.amdhsa_shared_vgpr_count 0
		.amdhsa_exception_fp_ieee_invalid_op 0
		.amdhsa_exception_fp_denorm_src 0
		.amdhsa_exception_fp_ieee_div_zero 0
		.amdhsa_exception_fp_ieee_overflow 0
		.amdhsa_exception_fp_ieee_underflow 0
		.amdhsa_exception_fp_ieee_inexact 0
		.amdhsa_exception_int_div_zero 0
	.end_amdhsa_kernel
	.section	.text._Z6kernelI6reduceILN6hipcub20BlockReduceAlgorithmE1EEdLj64ELj1ELj100EEvPKT0_PS4_,"axG",@progbits,_Z6kernelI6reduceILN6hipcub20BlockReduceAlgorithmE1EEdLj64ELj1ELj100EEvPKT0_PS4_,comdat
.Lfunc_end84:
	.size	_Z6kernelI6reduceILN6hipcub20BlockReduceAlgorithmE1EEdLj64ELj1ELj100EEvPKT0_PS4_, .Lfunc_end84-_Z6kernelI6reduceILN6hipcub20BlockReduceAlgorithmE1EEdLj64ELj1ELj100EEvPKT0_PS4_
                                        ; -- End function
	.section	.AMDGPU.csdata,"",@progbits
; Kernel info:
; codeLenInByte = 412
; NumSgprs: 18
; NumVgprs: 10
; ScratchSize: 0
; MemoryBound: 0
; FloatMode: 240
; IeeeMode: 1
; LDSByteSize: 512 bytes/workgroup (compile time only)
; SGPRBlocks: 2
; VGPRBlocks: 1
; NumSGPRsForWavesPerEU: 18
; NumVGPRsForWavesPerEU: 10
; Occupancy: 16
; WaveLimiterHint : 0
; COMPUTE_PGM_RSRC2:SCRATCH_EN: 0
; COMPUTE_PGM_RSRC2:USER_SGPR: 15
; COMPUTE_PGM_RSRC2:TRAP_HANDLER: 0
; COMPUTE_PGM_RSRC2:TGID_X_EN: 1
; COMPUTE_PGM_RSRC2:TGID_Y_EN: 0
; COMPUTE_PGM_RSRC2:TGID_Z_EN: 0
; COMPUTE_PGM_RSRC2:TIDIG_COMP_CNT: 0
	.section	.text._Z6kernelI6reduceILN6hipcub20BlockReduceAlgorithmE1EEdLj64ELj2ELj100EEvPKT0_PS4_,"axG",@progbits,_Z6kernelI6reduceILN6hipcub20BlockReduceAlgorithmE1EEdLj64ELj2ELj100EEvPKT0_PS4_,comdat
	.protected	_Z6kernelI6reduceILN6hipcub20BlockReduceAlgorithmE1EEdLj64ELj2ELj100EEvPKT0_PS4_ ; -- Begin function _Z6kernelI6reduceILN6hipcub20BlockReduceAlgorithmE1EEdLj64ELj2ELj100EEvPKT0_PS4_
	.globl	_Z6kernelI6reduceILN6hipcub20BlockReduceAlgorithmE1EEdLj64ELj2ELj100EEvPKT0_PS4_
	.p2align	8
	.type	_Z6kernelI6reduceILN6hipcub20BlockReduceAlgorithmE1EEdLj64ELj2ELj100EEvPKT0_PS4_,@function
_Z6kernelI6reduceILN6hipcub20BlockReduceAlgorithmE1EEdLj64ELj2ELj100EEvPKT0_PS4_: ; @_Z6kernelI6reduceILN6hipcub20BlockReduceAlgorithmE1EEdLj64ELj2ELj100EEvPKT0_PS4_
; %bb.0:
	s_clause 0x1
	s_load_b32 s5, s[0:1], 0x1c
	s_load_b128 s[0:3], s[0:1], 0x0
	v_dual_mov_b32 v2, 0 :: v_dual_lshlrev_b32 v5, 2, v0
	v_mov_b32_e32 v6, 0x7c
	s_mov_b32 s4, s15
	s_delay_alu instid0(VALU_DEP_2) | instskip(SKIP_2) | instid1(SALU_CYCLE_1)
	v_add_nc_u32_e32 v7, v5, v5
	s_waitcnt lgkmcnt(0)
	s_and_b32 s5, s5, 0xffff
	s_mul_i32 s5, s15, s5
	s_delay_alu instid0(SALU_CYCLE_1) | instskip(NEXT) | instid1(VALU_DEP_1)
	v_add_lshl_u32 v1, s5, v0, 1
	v_lshlrev_b64 v[1:2], 3, v[1:2]
	s_delay_alu instid0(VALU_DEP_1) | instskip(NEXT) | instid1(VALU_DEP_2)
	v_add_co_u32 v1, vcc_lo, s0, v1
	v_add_co_ci_u32_e32 v2, vcc_lo, s1, v2, vcc_lo
	s_movk_i32 s0, 0x64
	global_load_b128 v[1:4], v[1:2], off
.LBB85_1:                               ; =>This Inner Loop Header: Depth=1
	s_waitcnt vmcnt(0) lgkmcnt(0)
	v_add_f64 v[1:2], v[1:2], v[3:4]
	s_add_i32 s0, s0, -1
	s_delay_alu instid0(SALU_CYCLE_1)
	s_cmp_eq_u32 s0, 0
	ds_store_2addr_stride64_b32 v5, v1, v2 offset1:1
	s_waitcnt lgkmcnt(0)
	s_barrier
	buffer_gl0_inv
	ds_load_2addr_b64 v[8:11], v7 offset1:32
	s_waitcnt lgkmcnt(0)
	v_dual_mov_b32 v1, v8 :: v_dual_mov_b32 v2, v10
	v_mov_b32_e32 v10, v11
	s_delay_alu instid0(VALU_DEP_1) | instskip(NEXT) | instid1(VALU_DEP_1)
	v_add_f64 v[1:2], v[1:2], v[9:10]
	v_mov_b32_dpp v8, v1 quad_perm:[1,0,3,2] row_mask:0xf bank_mask:0xf
	s_delay_alu instid0(VALU_DEP_2) | instskip(NEXT) | instid1(VALU_DEP_1)
	v_mov_b32_dpp v9, v2 quad_perm:[1,0,3,2] row_mask:0xf bank_mask:0xf
	v_add_f64 v[1:2], v[1:2], v[8:9]
	s_delay_alu instid0(VALU_DEP_1) | instskip(NEXT) | instid1(VALU_DEP_2)
	v_mov_b32_dpp v8, v1 quad_perm:[2,3,0,1] row_mask:0xf bank_mask:0xf
	v_mov_b32_dpp v9, v2 quad_perm:[2,3,0,1] row_mask:0xf bank_mask:0xf
	s_delay_alu instid0(VALU_DEP_1) | instskip(NEXT) | instid1(VALU_DEP_1)
	v_add_f64 v[1:2], v[1:2], v[8:9]
	v_mov_b32_dpp v8, v1 row_ror:4 row_mask:0xf bank_mask:0xf
	s_delay_alu instid0(VALU_DEP_2) | instskip(NEXT) | instid1(VALU_DEP_1)
	v_mov_b32_dpp v9, v2 row_ror:4 row_mask:0xf bank_mask:0xf
	v_add_f64 v[1:2], v[1:2], v[8:9]
	s_delay_alu instid0(VALU_DEP_1) | instskip(NEXT) | instid1(VALU_DEP_2)
	v_mov_b32_dpp v8, v1 row_ror:8 row_mask:0xf bank_mask:0xf
	v_mov_b32_dpp v9, v2 row_ror:8 row_mask:0xf bank_mask:0xf
	s_delay_alu instid0(VALU_DEP_1)
	v_add_f64 v[1:2], v[1:2], v[8:9]
	ds_swizzle_b32 v8, v1 offset:swizzle(BROADCAST,32,15)
	ds_swizzle_b32 v9, v2 offset:swizzle(BROADCAST,32,15)
	s_waitcnt lgkmcnt(0)
	v_add_f64 v[1:2], v[1:2], v[8:9]
	ds_bpermute_b32 v1, v6, v1
	ds_bpermute_b32 v2, v6, v2
	s_cbranch_scc0 .LBB85_1
; %bb.2:
	s_mov_b32 s5, 0
	s_mov_b32 s0, exec_lo
	v_cmpx_eq_u32_e32 0, v0
	s_cbranch_execz .LBB85_4
; %bb.3:
	s_lshl_b64 s[0:1], s[4:5], 3
	v_mov_b32_e32 v0, 0
	s_add_u32 s0, s2, s0
	s_addc_u32 s1, s3, s1
	s_waitcnt lgkmcnt(0)
	global_store_b64 v0, v[1:2], s[0:1]
.LBB85_4:
	s_nop 0
	s_sendmsg sendmsg(MSG_DEALLOC_VGPRS)
	s_endpgm
	.section	.rodata,"a",@progbits
	.p2align	6, 0x0
	.amdhsa_kernel _Z6kernelI6reduceILN6hipcub20BlockReduceAlgorithmE1EEdLj64ELj2ELj100EEvPKT0_PS4_
		.amdhsa_group_segment_fixed_size 512
		.amdhsa_private_segment_fixed_size 0
		.amdhsa_kernarg_size 272
		.amdhsa_user_sgpr_count 15
		.amdhsa_user_sgpr_dispatch_ptr 0
		.amdhsa_user_sgpr_queue_ptr 0
		.amdhsa_user_sgpr_kernarg_segment_ptr 1
		.amdhsa_user_sgpr_dispatch_id 0
		.amdhsa_user_sgpr_private_segment_size 0
		.amdhsa_wavefront_size32 1
		.amdhsa_uses_dynamic_stack 0
		.amdhsa_enable_private_segment 0
		.amdhsa_system_sgpr_workgroup_id_x 1
		.amdhsa_system_sgpr_workgroup_id_y 0
		.amdhsa_system_sgpr_workgroup_id_z 0
		.amdhsa_system_sgpr_workgroup_info 0
		.amdhsa_system_vgpr_workitem_id 0
		.amdhsa_next_free_vgpr 12
		.amdhsa_next_free_sgpr 16
		.amdhsa_reserve_vcc 1
		.amdhsa_float_round_mode_32 0
		.amdhsa_float_round_mode_16_64 0
		.amdhsa_float_denorm_mode_32 3
		.amdhsa_float_denorm_mode_16_64 3
		.amdhsa_dx10_clamp 1
		.amdhsa_ieee_mode 1
		.amdhsa_fp16_overflow 0
		.amdhsa_workgroup_processor_mode 1
		.amdhsa_memory_ordered 1
		.amdhsa_forward_progress 0
		.amdhsa_shared_vgpr_count 0
		.amdhsa_exception_fp_ieee_invalid_op 0
		.amdhsa_exception_fp_denorm_src 0
		.amdhsa_exception_fp_ieee_div_zero 0
		.amdhsa_exception_fp_ieee_overflow 0
		.amdhsa_exception_fp_ieee_underflow 0
		.amdhsa_exception_fp_ieee_inexact 0
		.amdhsa_exception_int_div_zero 0
	.end_amdhsa_kernel
	.section	.text._Z6kernelI6reduceILN6hipcub20BlockReduceAlgorithmE1EEdLj64ELj2ELj100EEvPKT0_PS4_,"axG",@progbits,_Z6kernelI6reduceILN6hipcub20BlockReduceAlgorithmE1EEdLj64ELj2ELj100EEvPKT0_PS4_,comdat
.Lfunc_end85:
	.size	_Z6kernelI6reduceILN6hipcub20BlockReduceAlgorithmE1EEdLj64ELj2ELj100EEvPKT0_PS4_, .Lfunc_end85-_Z6kernelI6reduceILN6hipcub20BlockReduceAlgorithmE1EEdLj64ELj2ELj100EEvPKT0_PS4_
                                        ; -- End function
	.section	.AMDGPU.csdata,"",@progbits
; Kernel info:
; codeLenInByte = 420
; NumSgprs: 18
; NumVgprs: 12
; ScratchSize: 0
; MemoryBound: 0
; FloatMode: 240
; IeeeMode: 1
; LDSByteSize: 512 bytes/workgroup (compile time only)
; SGPRBlocks: 2
; VGPRBlocks: 1
; NumSGPRsForWavesPerEU: 18
; NumVGPRsForWavesPerEU: 12
; Occupancy: 16
; WaveLimiterHint : 0
; COMPUTE_PGM_RSRC2:SCRATCH_EN: 0
; COMPUTE_PGM_RSRC2:USER_SGPR: 15
; COMPUTE_PGM_RSRC2:TRAP_HANDLER: 0
; COMPUTE_PGM_RSRC2:TGID_X_EN: 1
; COMPUTE_PGM_RSRC2:TGID_Y_EN: 0
; COMPUTE_PGM_RSRC2:TGID_Z_EN: 0
; COMPUTE_PGM_RSRC2:TIDIG_COMP_CNT: 0
	.section	.text._Z6kernelI6reduceILN6hipcub20BlockReduceAlgorithmE1EEdLj64ELj3ELj100EEvPKT0_PS4_,"axG",@progbits,_Z6kernelI6reduceILN6hipcub20BlockReduceAlgorithmE1EEdLj64ELj3ELj100EEvPKT0_PS4_,comdat
	.protected	_Z6kernelI6reduceILN6hipcub20BlockReduceAlgorithmE1EEdLj64ELj3ELj100EEvPKT0_PS4_ ; -- Begin function _Z6kernelI6reduceILN6hipcub20BlockReduceAlgorithmE1EEdLj64ELj3ELj100EEvPKT0_PS4_
	.globl	_Z6kernelI6reduceILN6hipcub20BlockReduceAlgorithmE1EEdLj64ELj3ELj100EEvPKT0_PS4_
	.p2align	8
	.type	_Z6kernelI6reduceILN6hipcub20BlockReduceAlgorithmE1EEdLj64ELj3ELj100EEvPKT0_PS4_,@function
_Z6kernelI6reduceILN6hipcub20BlockReduceAlgorithmE1EEdLj64ELj3ELj100EEvPKT0_PS4_: ; @_Z6kernelI6reduceILN6hipcub20BlockReduceAlgorithmE1EEdLj64ELj3ELj100EEvPKT0_PS4_
; %bb.0:
	s_load_b32 s2, s[0:1], 0x1c
	s_mov_b32 s4, s15
	s_waitcnt lgkmcnt(0)
	s_and_b32 s2, s2, 0xffff
	s_delay_alu instid0(SALU_CYCLE_1) | instskip(SKIP_1) | instid1(VALU_DEP_1)
	v_mad_u64_u32 v[1:2], null, s4, s2, v[0:1]
	s_load_b128 s[0:3], s[0:1], 0x0
	v_lshl_add_u32 v1, v1, 1, v1
	s_delay_alu instid0(VALU_DEP_1) | instskip(NEXT) | instid1(VALU_DEP_1)
	v_dual_mov_b32 v2, 0 :: v_dual_add_nc_u32 v3, 1, v1
	v_mov_b32_e32 v4, v2
	v_lshlrev_b64 v[5:6], 3, v[1:2]
	v_add_nc_u32_e32 v1, 2, v1
	s_delay_alu instid0(VALU_DEP_3) | instskip(NEXT) | instid1(VALU_DEP_2)
	v_lshlrev_b64 v[3:4], 3, v[3:4]
	v_lshlrev_b64 v[1:2], 3, v[1:2]
	s_waitcnt lgkmcnt(0)
	s_delay_alu instid0(VALU_DEP_4) | instskip(SKIP_1) | instid1(VALU_DEP_4)
	v_add_co_u32 v5, vcc_lo, s0, v5
	v_add_co_ci_u32_e32 v6, vcc_lo, s1, v6, vcc_lo
	v_add_co_u32 v3, vcc_lo, s0, v3
	v_add_co_ci_u32_e32 v4, vcc_lo, s1, v4, vcc_lo
	;; [unrolled: 2-line block ×3, first 2 shown]
	s_clause 0x2
	global_load_b64 v[5:6], v[5:6], off
	global_load_b64 v[1:2], v[3:4], off
	;; [unrolled: 1-line block ×3, first 2 shown]
	v_dual_mov_b32 v8, 0x7c :: v_dual_lshlrev_b32 v7, 2, v0
	s_movk_i32 s0, 0x64
	s_delay_alu instid0(VALU_DEP_1)
	v_add_nc_u32_e32 v9, v7, v7
.LBB86_1:                               ; =>This Inner Loop Header: Depth=1
	s_waitcnt vmcnt(1) lgkmcnt(0)
	v_add_f64 v[5:6], v[5:6], v[1:2]
	s_add_i32 s0, s0, -1
	s_delay_alu instid0(SALU_CYCLE_1) | instskip(SKIP_1) | instid1(VALU_DEP_1)
	s_cmp_eq_u32 s0, 0
	s_waitcnt vmcnt(0)
	v_add_f64 v[5:6], v[3:4], v[5:6]
	ds_store_2addr_stride64_b32 v7, v5, v6 offset1:1
	s_waitcnt lgkmcnt(0)
	s_barrier
	buffer_gl0_inv
	ds_load_2addr_b64 v[10:13], v9 offset1:32
	s_waitcnt lgkmcnt(0)
	v_dual_mov_b32 v5, v10 :: v_dual_mov_b32 v6, v12
	v_mov_b32_e32 v12, v13
	s_delay_alu instid0(VALU_DEP_1) | instskip(NEXT) | instid1(VALU_DEP_1)
	v_add_f64 v[5:6], v[5:6], v[11:12]
	v_mov_b32_dpp v10, v5 quad_perm:[1,0,3,2] row_mask:0xf bank_mask:0xf
	s_delay_alu instid0(VALU_DEP_2) | instskip(NEXT) | instid1(VALU_DEP_1)
	v_mov_b32_dpp v11, v6 quad_perm:[1,0,3,2] row_mask:0xf bank_mask:0xf
	v_add_f64 v[5:6], v[5:6], v[10:11]
	s_delay_alu instid0(VALU_DEP_1) | instskip(NEXT) | instid1(VALU_DEP_2)
	v_mov_b32_dpp v10, v5 quad_perm:[2,3,0,1] row_mask:0xf bank_mask:0xf
	v_mov_b32_dpp v11, v6 quad_perm:[2,3,0,1] row_mask:0xf bank_mask:0xf
	s_delay_alu instid0(VALU_DEP_1) | instskip(NEXT) | instid1(VALU_DEP_1)
	v_add_f64 v[5:6], v[5:6], v[10:11]
	v_mov_b32_dpp v10, v5 row_ror:4 row_mask:0xf bank_mask:0xf
	s_delay_alu instid0(VALU_DEP_2) | instskip(NEXT) | instid1(VALU_DEP_1)
	v_mov_b32_dpp v11, v6 row_ror:4 row_mask:0xf bank_mask:0xf
	v_add_f64 v[5:6], v[5:6], v[10:11]
	s_delay_alu instid0(VALU_DEP_1) | instskip(NEXT) | instid1(VALU_DEP_2)
	v_mov_b32_dpp v10, v5 row_ror:8 row_mask:0xf bank_mask:0xf
	v_mov_b32_dpp v11, v6 row_ror:8 row_mask:0xf bank_mask:0xf
	s_delay_alu instid0(VALU_DEP_1)
	v_add_f64 v[5:6], v[5:6], v[10:11]
	ds_swizzle_b32 v10, v5 offset:swizzle(BROADCAST,32,15)
	ds_swizzle_b32 v11, v6 offset:swizzle(BROADCAST,32,15)
	s_waitcnt lgkmcnt(0)
	v_add_f64 v[5:6], v[5:6], v[10:11]
	ds_bpermute_b32 v5, v8, v5
	ds_bpermute_b32 v6, v8, v6
	s_cbranch_scc0 .LBB86_1
; %bb.2:
	s_mov_b32 s5, 0
	s_mov_b32 s0, exec_lo
	v_cmpx_eq_u32_e32 0, v0
	s_cbranch_execz .LBB86_4
; %bb.3:
	s_lshl_b64 s[0:1], s[4:5], 3
	v_mov_b32_e32 v0, 0
	s_add_u32 s0, s2, s0
	s_addc_u32 s1, s3, s1
	s_waitcnt lgkmcnt(0)
	global_store_b64 v0, v[5:6], s[0:1]
.LBB86_4:
	s_nop 0
	s_sendmsg sendmsg(MSG_DEALLOC_VGPRS)
	s_endpgm
	.section	.rodata,"a",@progbits
	.p2align	6, 0x0
	.amdhsa_kernel _Z6kernelI6reduceILN6hipcub20BlockReduceAlgorithmE1EEdLj64ELj3ELj100EEvPKT0_PS4_
		.amdhsa_group_segment_fixed_size 512
		.amdhsa_private_segment_fixed_size 0
		.amdhsa_kernarg_size 272
		.amdhsa_user_sgpr_count 15
		.amdhsa_user_sgpr_dispatch_ptr 0
		.amdhsa_user_sgpr_queue_ptr 0
		.amdhsa_user_sgpr_kernarg_segment_ptr 1
		.amdhsa_user_sgpr_dispatch_id 0
		.amdhsa_user_sgpr_private_segment_size 0
		.amdhsa_wavefront_size32 1
		.amdhsa_uses_dynamic_stack 0
		.amdhsa_enable_private_segment 0
		.amdhsa_system_sgpr_workgroup_id_x 1
		.amdhsa_system_sgpr_workgroup_id_y 0
		.amdhsa_system_sgpr_workgroup_id_z 0
		.amdhsa_system_sgpr_workgroup_info 0
		.amdhsa_system_vgpr_workitem_id 0
		.amdhsa_next_free_vgpr 14
		.amdhsa_next_free_sgpr 16
		.amdhsa_reserve_vcc 1
		.amdhsa_float_round_mode_32 0
		.amdhsa_float_round_mode_16_64 0
		.amdhsa_float_denorm_mode_32 3
		.amdhsa_float_denorm_mode_16_64 3
		.amdhsa_dx10_clamp 1
		.amdhsa_ieee_mode 1
		.amdhsa_fp16_overflow 0
		.amdhsa_workgroup_processor_mode 1
		.amdhsa_memory_ordered 1
		.amdhsa_forward_progress 0
		.amdhsa_shared_vgpr_count 0
		.amdhsa_exception_fp_ieee_invalid_op 0
		.amdhsa_exception_fp_denorm_src 0
		.amdhsa_exception_fp_ieee_div_zero 0
		.amdhsa_exception_fp_ieee_overflow 0
		.amdhsa_exception_fp_ieee_underflow 0
		.amdhsa_exception_fp_ieee_inexact 0
		.amdhsa_exception_int_div_zero 0
	.end_amdhsa_kernel
	.section	.text._Z6kernelI6reduceILN6hipcub20BlockReduceAlgorithmE1EEdLj64ELj3ELj100EEvPKT0_PS4_,"axG",@progbits,_Z6kernelI6reduceILN6hipcub20BlockReduceAlgorithmE1EEdLj64ELj3ELj100EEvPKT0_PS4_,comdat
.Lfunc_end86:
	.size	_Z6kernelI6reduceILN6hipcub20BlockReduceAlgorithmE1EEdLj64ELj3ELj100EEvPKT0_PS4_, .Lfunc_end86-_Z6kernelI6reduceILN6hipcub20BlockReduceAlgorithmE1EEdLj64ELj3ELj100EEvPKT0_PS4_
                                        ; -- End function
	.section	.AMDGPU.csdata,"",@progbits
; Kernel info:
; codeLenInByte = 516
; NumSgprs: 18
; NumVgprs: 14
; ScratchSize: 0
; MemoryBound: 0
; FloatMode: 240
; IeeeMode: 1
; LDSByteSize: 512 bytes/workgroup (compile time only)
; SGPRBlocks: 2
; VGPRBlocks: 1
; NumSGPRsForWavesPerEU: 18
; NumVGPRsForWavesPerEU: 14
; Occupancy: 16
; WaveLimiterHint : 0
; COMPUTE_PGM_RSRC2:SCRATCH_EN: 0
; COMPUTE_PGM_RSRC2:USER_SGPR: 15
; COMPUTE_PGM_RSRC2:TRAP_HANDLER: 0
; COMPUTE_PGM_RSRC2:TGID_X_EN: 1
; COMPUTE_PGM_RSRC2:TGID_Y_EN: 0
; COMPUTE_PGM_RSRC2:TGID_Z_EN: 0
; COMPUTE_PGM_RSRC2:TIDIG_COMP_CNT: 0
	.section	.text._Z6kernelI6reduceILN6hipcub20BlockReduceAlgorithmE1EEdLj64ELj4ELj100EEvPKT0_PS4_,"axG",@progbits,_Z6kernelI6reduceILN6hipcub20BlockReduceAlgorithmE1EEdLj64ELj4ELj100EEvPKT0_PS4_,comdat
	.protected	_Z6kernelI6reduceILN6hipcub20BlockReduceAlgorithmE1EEdLj64ELj4ELj100EEvPKT0_PS4_ ; -- Begin function _Z6kernelI6reduceILN6hipcub20BlockReduceAlgorithmE1EEdLj64ELj4ELj100EEvPKT0_PS4_
	.globl	_Z6kernelI6reduceILN6hipcub20BlockReduceAlgorithmE1EEdLj64ELj4ELj100EEvPKT0_PS4_
	.p2align	8
	.type	_Z6kernelI6reduceILN6hipcub20BlockReduceAlgorithmE1EEdLj64ELj4ELj100EEvPKT0_PS4_,@function
_Z6kernelI6reduceILN6hipcub20BlockReduceAlgorithmE1EEdLj64ELj4ELj100EEvPKT0_PS4_: ; @_Z6kernelI6reduceILN6hipcub20BlockReduceAlgorithmE1EEdLj64ELj4ELj100EEvPKT0_PS4_
; %bb.0:
	s_clause 0x1
	s_load_b32 s5, s[0:1], 0x1c
	s_load_b128 s[0:3], s[0:1], 0x0
	v_dual_mov_b32 v2, 0 :: v_dual_lshlrev_b32 v9, 2, v0
	v_mov_b32_e32 v10, 0x7c
	s_mov_b32 s4, s15
	s_delay_alu instid0(VALU_DEP_2) | instskip(SKIP_2) | instid1(SALU_CYCLE_1)
	v_add_nc_u32_e32 v11, v9, v9
	s_waitcnt lgkmcnt(0)
	s_and_b32 s5, s5, 0xffff
	s_mul_i32 s5, s15, s5
	s_delay_alu instid0(SALU_CYCLE_1) | instskip(NEXT) | instid1(VALU_DEP_1)
	v_add_lshl_u32 v1, s5, v0, 2
	v_lshlrev_b64 v[1:2], 3, v[1:2]
	s_delay_alu instid0(VALU_DEP_1) | instskip(NEXT) | instid1(VALU_DEP_2)
	v_add_co_u32 v1, vcc_lo, s0, v1
	v_add_co_ci_u32_e32 v2, vcc_lo, s1, v2, vcc_lo
	s_movk_i32 s0, 0x64
	s_clause 0x1
	global_load_b128 v[5:8], v[1:2], off offset:16
	global_load_b128 v[1:4], v[1:2], off
.LBB87_1:                               ; =>This Inner Loop Header: Depth=1
	s_waitcnt vmcnt(0) lgkmcnt(0)
	v_add_f64 v[1:2], v[1:2], v[3:4]
	s_add_i32 s0, s0, -1
	s_delay_alu instid0(SALU_CYCLE_1) | instskip(NEXT) | instid1(VALU_DEP_1)
	s_cmp_eq_u32 s0, 0
	v_add_f64 v[1:2], v[5:6], v[1:2]
	s_delay_alu instid0(VALU_DEP_1)
	v_add_f64 v[1:2], v[7:8], v[1:2]
	ds_store_2addr_stride64_b32 v9, v1, v2 offset1:1
	s_waitcnt lgkmcnt(0)
	s_barrier
	buffer_gl0_inv
	ds_load_2addr_b64 v[12:15], v11 offset1:32
	s_waitcnt lgkmcnt(0)
	v_dual_mov_b32 v1, v12 :: v_dual_mov_b32 v2, v14
	v_mov_b32_e32 v14, v15
	s_delay_alu instid0(VALU_DEP_1) | instskip(NEXT) | instid1(VALU_DEP_1)
	v_add_f64 v[1:2], v[1:2], v[13:14]
	v_mov_b32_dpp v12, v1 quad_perm:[1,0,3,2] row_mask:0xf bank_mask:0xf
	s_delay_alu instid0(VALU_DEP_2) | instskip(NEXT) | instid1(VALU_DEP_1)
	v_mov_b32_dpp v13, v2 quad_perm:[1,0,3,2] row_mask:0xf bank_mask:0xf
	v_add_f64 v[1:2], v[1:2], v[12:13]
	s_delay_alu instid0(VALU_DEP_1) | instskip(NEXT) | instid1(VALU_DEP_2)
	v_mov_b32_dpp v12, v1 quad_perm:[2,3,0,1] row_mask:0xf bank_mask:0xf
	v_mov_b32_dpp v13, v2 quad_perm:[2,3,0,1] row_mask:0xf bank_mask:0xf
	s_delay_alu instid0(VALU_DEP_1) | instskip(NEXT) | instid1(VALU_DEP_1)
	v_add_f64 v[1:2], v[1:2], v[12:13]
	v_mov_b32_dpp v12, v1 row_ror:4 row_mask:0xf bank_mask:0xf
	s_delay_alu instid0(VALU_DEP_2) | instskip(NEXT) | instid1(VALU_DEP_1)
	v_mov_b32_dpp v13, v2 row_ror:4 row_mask:0xf bank_mask:0xf
	v_add_f64 v[1:2], v[1:2], v[12:13]
	s_delay_alu instid0(VALU_DEP_1) | instskip(NEXT) | instid1(VALU_DEP_2)
	v_mov_b32_dpp v12, v1 row_ror:8 row_mask:0xf bank_mask:0xf
	v_mov_b32_dpp v13, v2 row_ror:8 row_mask:0xf bank_mask:0xf
	s_delay_alu instid0(VALU_DEP_1)
	v_add_f64 v[1:2], v[1:2], v[12:13]
	ds_swizzle_b32 v12, v1 offset:swizzle(BROADCAST,32,15)
	ds_swizzle_b32 v13, v2 offset:swizzle(BROADCAST,32,15)
	s_waitcnt lgkmcnt(0)
	v_add_f64 v[1:2], v[1:2], v[12:13]
	ds_bpermute_b32 v1, v10, v1
	ds_bpermute_b32 v2, v10, v2
	s_cbranch_scc0 .LBB87_1
; %bb.2:
	s_mov_b32 s5, 0
	s_mov_b32 s0, exec_lo
	v_cmpx_eq_u32_e32 0, v0
	s_cbranch_execz .LBB87_4
; %bb.3:
	s_lshl_b64 s[0:1], s[4:5], 3
	v_mov_b32_e32 v0, 0
	s_add_u32 s0, s2, s0
	s_addc_u32 s1, s3, s1
	s_waitcnt lgkmcnt(0)
	global_store_b64 v0, v[1:2], s[0:1]
.LBB87_4:
	s_nop 0
	s_sendmsg sendmsg(MSG_DEALLOC_VGPRS)
	s_endpgm
	.section	.rodata,"a",@progbits
	.p2align	6, 0x0
	.amdhsa_kernel _Z6kernelI6reduceILN6hipcub20BlockReduceAlgorithmE1EEdLj64ELj4ELj100EEvPKT0_PS4_
		.amdhsa_group_segment_fixed_size 512
		.amdhsa_private_segment_fixed_size 0
		.amdhsa_kernarg_size 272
		.amdhsa_user_sgpr_count 15
		.amdhsa_user_sgpr_dispatch_ptr 0
		.amdhsa_user_sgpr_queue_ptr 0
		.amdhsa_user_sgpr_kernarg_segment_ptr 1
		.amdhsa_user_sgpr_dispatch_id 0
		.amdhsa_user_sgpr_private_segment_size 0
		.amdhsa_wavefront_size32 1
		.amdhsa_uses_dynamic_stack 0
		.amdhsa_enable_private_segment 0
		.amdhsa_system_sgpr_workgroup_id_x 1
		.amdhsa_system_sgpr_workgroup_id_y 0
		.amdhsa_system_sgpr_workgroup_id_z 0
		.amdhsa_system_sgpr_workgroup_info 0
		.amdhsa_system_vgpr_workitem_id 0
		.amdhsa_next_free_vgpr 16
		.amdhsa_next_free_sgpr 16
		.amdhsa_reserve_vcc 1
		.amdhsa_float_round_mode_32 0
		.amdhsa_float_round_mode_16_64 0
		.amdhsa_float_denorm_mode_32 3
		.amdhsa_float_denorm_mode_16_64 3
		.amdhsa_dx10_clamp 1
		.amdhsa_ieee_mode 1
		.amdhsa_fp16_overflow 0
		.amdhsa_workgroup_processor_mode 1
		.amdhsa_memory_ordered 1
		.amdhsa_forward_progress 0
		.amdhsa_shared_vgpr_count 0
		.amdhsa_exception_fp_ieee_invalid_op 0
		.amdhsa_exception_fp_denorm_src 0
		.amdhsa_exception_fp_ieee_div_zero 0
		.amdhsa_exception_fp_ieee_overflow 0
		.amdhsa_exception_fp_ieee_underflow 0
		.amdhsa_exception_fp_ieee_inexact 0
		.amdhsa_exception_int_div_zero 0
	.end_amdhsa_kernel
	.section	.text._Z6kernelI6reduceILN6hipcub20BlockReduceAlgorithmE1EEdLj64ELj4ELj100EEvPKT0_PS4_,"axG",@progbits,_Z6kernelI6reduceILN6hipcub20BlockReduceAlgorithmE1EEdLj64ELj4ELj100EEvPKT0_PS4_,comdat
.Lfunc_end87:
	.size	_Z6kernelI6reduceILN6hipcub20BlockReduceAlgorithmE1EEdLj64ELj4ELj100EEvPKT0_PS4_, .Lfunc_end87-_Z6kernelI6reduceILN6hipcub20BlockReduceAlgorithmE1EEdLj64ELj4ELj100EEvPKT0_PS4_
                                        ; -- End function
	.section	.AMDGPU.csdata,"",@progbits
; Kernel info:
; codeLenInByte = 452
; NumSgprs: 18
; NumVgprs: 16
; ScratchSize: 0
; MemoryBound: 0
; FloatMode: 240
; IeeeMode: 1
; LDSByteSize: 512 bytes/workgroup (compile time only)
; SGPRBlocks: 2
; VGPRBlocks: 1
; NumSGPRsForWavesPerEU: 18
; NumVGPRsForWavesPerEU: 16
; Occupancy: 16
; WaveLimiterHint : 0
; COMPUTE_PGM_RSRC2:SCRATCH_EN: 0
; COMPUTE_PGM_RSRC2:USER_SGPR: 15
; COMPUTE_PGM_RSRC2:TRAP_HANDLER: 0
; COMPUTE_PGM_RSRC2:TGID_X_EN: 1
; COMPUTE_PGM_RSRC2:TGID_Y_EN: 0
; COMPUTE_PGM_RSRC2:TGID_Z_EN: 0
; COMPUTE_PGM_RSRC2:TIDIG_COMP_CNT: 0
	.section	.text._Z6kernelI6reduceILN6hipcub20BlockReduceAlgorithmE1EEdLj64ELj8ELj100EEvPKT0_PS4_,"axG",@progbits,_Z6kernelI6reduceILN6hipcub20BlockReduceAlgorithmE1EEdLj64ELj8ELj100EEvPKT0_PS4_,comdat
	.protected	_Z6kernelI6reduceILN6hipcub20BlockReduceAlgorithmE1EEdLj64ELj8ELj100EEvPKT0_PS4_ ; -- Begin function _Z6kernelI6reduceILN6hipcub20BlockReduceAlgorithmE1EEdLj64ELj8ELj100EEvPKT0_PS4_
	.globl	_Z6kernelI6reduceILN6hipcub20BlockReduceAlgorithmE1EEdLj64ELj8ELj100EEvPKT0_PS4_
	.p2align	8
	.type	_Z6kernelI6reduceILN6hipcub20BlockReduceAlgorithmE1EEdLj64ELj8ELj100EEvPKT0_PS4_,@function
_Z6kernelI6reduceILN6hipcub20BlockReduceAlgorithmE1EEdLj64ELj8ELj100EEvPKT0_PS4_: ; @_Z6kernelI6reduceILN6hipcub20BlockReduceAlgorithmE1EEdLj64ELj8ELj100EEvPKT0_PS4_
; %bb.0:
	s_clause 0x1
	s_load_b32 s5, s[0:1], 0x1c
	s_load_b128 s[0:3], s[0:1], 0x0
	v_dual_mov_b32 v2, 0 :: v_dual_lshlrev_b32 v17, 2, v0
	v_mov_b32_e32 v18, 0x7c
	s_mov_b32 s4, s15
	s_delay_alu instid0(VALU_DEP_2) | instskip(SKIP_2) | instid1(SALU_CYCLE_1)
	v_add_nc_u32_e32 v19, v17, v17
	s_waitcnt lgkmcnt(0)
	s_and_b32 s5, s5, 0xffff
	s_mul_i32 s5, s15, s5
	s_delay_alu instid0(SALU_CYCLE_1) | instskip(NEXT) | instid1(VALU_DEP_1)
	v_add_lshl_u32 v1, s5, v0, 3
	v_lshlrev_b64 v[1:2], 3, v[1:2]
	s_delay_alu instid0(VALU_DEP_1) | instskip(NEXT) | instid1(VALU_DEP_2)
	v_add_co_u32 v1, vcc_lo, s0, v1
	v_add_co_ci_u32_e32 v2, vcc_lo, s1, v2, vcc_lo
	s_movk_i32 s0, 0x64
	s_clause 0x3
	global_load_b128 v[5:8], v[1:2], off offset:48
	global_load_b128 v[9:12], v[1:2], off offset:32
	;; [unrolled: 1-line block ×3, first 2 shown]
	global_load_b128 v[1:4], v[1:2], off
.LBB88_1:                               ; =>This Inner Loop Header: Depth=1
	s_waitcnt vmcnt(0) lgkmcnt(0)
	v_add_f64 v[1:2], v[3:4], v[1:2]
	s_add_i32 s0, s0, -1
	s_delay_alu instid0(SALU_CYCLE_1) | instskip(NEXT) | instid1(VALU_DEP_1)
	s_cmp_eq_u32 s0, 0
	v_add_f64 v[1:2], v[13:14], v[1:2]
	s_delay_alu instid0(VALU_DEP_1) | instskip(NEXT) | instid1(VALU_DEP_1)
	v_add_f64 v[1:2], v[15:16], v[1:2]
	v_add_f64 v[1:2], v[9:10], v[1:2]
	s_delay_alu instid0(VALU_DEP_1) | instskip(NEXT) | instid1(VALU_DEP_1)
	v_add_f64 v[1:2], v[11:12], v[1:2]
	v_add_f64 v[1:2], v[5:6], v[1:2]
	s_delay_alu instid0(VALU_DEP_1)
	v_add_f64 v[1:2], v[7:8], v[1:2]
	ds_store_2addr_stride64_b32 v17, v1, v2 offset1:1
	s_waitcnt lgkmcnt(0)
	s_barrier
	buffer_gl0_inv
	ds_load_2addr_b64 v[20:23], v19 offset1:32
	s_waitcnt lgkmcnt(0)
	v_dual_mov_b32 v1, v20 :: v_dual_mov_b32 v2, v22
	v_mov_b32_e32 v22, v23
	s_delay_alu instid0(VALU_DEP_1) | instskip(NEXT) | instid1(VALU_DEP_1)
	v_add_f64 v[1:2], v[1:2], v[21:22]
	v_mov_b32_dpp v20, v1 quad_perm:[1,0,3,2] row_mask:0xf bank_mask:0xf
	s_delay_alu instid0(VALU_DEP_2) | instskip(NEXT) | instid1(VALU_DEP_1)
	v_mov_b32_dpp v21, v2 quad_perm:[1,0,3,2] row_mask:0xf bank_mask:0xf
	v_add_f64 v[1:2], v[1:2], v[20:21]
	s_delay_alu instid0(VALU_DEP_1) | instskip(NEXT) | instid1(VALU_DEP_2)
	v_mov_b32_dpp v20, v1 quad_perm:[2,3,0,1] row_mask:0xf bank_mask:0xf
	v_mov_b32_dpp v21, v2 quad_perm:[2,3,0,1] row_mask:0xf bank_mask:0xf
	s_delay_alu instid0(VALU_DEP_1) | instskip(NEXT) | instid1(VALU_DEP_1)
	v_add_f64 v[1:2], v[1:2], v[20:21]
	v_mov_b32_dpp v20, v1 row_ror:4 row_mask:0xf bank_mask:0xf
	s_delay_alu instid0(VALU_DEP_2) | instskip(NEXT) | instid1(VALU_DEP_1)
	v_mov_b32_dpp v21, v2 row_ror:4 row_mask:0xf bank_mask:0xf
	v_add_f64 v[1:2], v[1:2], v[20:21]
	s_delay_alu instid0(VALU_DEP_1) | instskip(NEXT) | instid1(VALU_DEP_2)
	v_mov_b32_dpp v20, v1 row_ror:8 row_mask:0xf bank_mask:0xf
	v_mov_b32_dpp v21, v2 row_ror:8 row_mask:0xf bank_mask:0xf
	s_delay_alu instid0(VALU_DEP_1)
	v_add_f64 v[1:2], v[1:2], v[20:21]
	ds_swizzle_b32 v20, v1 offset:swizzle(BROADCAST,32,15)
	ds_swizzle_b32 v21, v2 offset:swizzle(BROADCAST,32,15)
	s_waitcnt lgkmcnt(0)
	v_add_f64 v[1:2], v[1:2], v[20:21]
	ds_bpermute_b32 v1, v18, v1
	ds_bpermute_b32 v2, v18, v2
	s_cbranch_scc0 .LBB88_1
; %bb.2:
	s_mov_b32 s5, 0
	s_mov_b32 s0, exec_lo
	v_cmpx_eq_u32_e32 0, v0
	s_cbranch_execz .LBB88_4
; %bb.3:
	s_lshl_b64 s[0:1], s[4:5], 3
	v_mov_b32_e32 v0, 0
	s_add_u32 s0, s2, s0
	s_addc_u32 s1, s3, s1
	s_waitcnt lgkmcnt(0)
	global_store_b64 v0, v[1:2], s[0:1]
.LBB88_4:
	s_nop 0
	s_sendmsg sendmsg(MSG_DEALLOC_VGPRS)
	s_endpgm
	.section	.rodata,"a",@progbits
	.p2align	6, 0x0
	.amdhsa_kernel _Z6kernelI6reduceILN6hipcub20BlockReduceAlgorithmE1EEdLj64ELj8ELj100EEvPKT0_PS4_
		.amdhsa_group_segment_fixed_size 512
		.amdhsa_private_segment_fixed_size 0
		.amdhsa_kernarg_size 272
		.amdhsa_user_sgpr_count 15
		.amdhsa_user_sgpr_dispatch_ptr 0
		.amdhsa_user_sgpr_queue_ptr 0
		.amdhsa_user_sgpr_kernarg_segment_ptr 1
		.amdhsa_user_sgpr_dispatch_id 0
		.amdhsa_user_sgpr_private_segment_size 0
		.amdhsa_wavefront_size32 1
		.amdhsa_uses_dynamic_stack 0
		.amdhsa_enable_private_segment 0
		.amdhsa_system_sgpr_workgroup_id_x 1
		.amdhsa_system_sgpr_workgroup_id_y 0
		.amdhsa_system_sgpr_workgroup_id_z 0
		.amdhsa_system_sgpr_workgroup_info 0
		.amdhsa_system_vgpr_workitem_id 0
		.amdhsa_next_free_vgpr 24
		.amdhsa_next_free_sgpr 16
		.amdhsa_reserve_vcc 1
		.amdhsa_float_round_mode_32 0
		.amdhsa_float_round_mode_16_64 0
		.amdhsa_float_denorm_mode_32 3
		.amdhsa_float_denorm_mode_16_64 3
		.amdhsa_dx10_clamp 1
		.amdhsa_ieee_mode 1
		.amdhsa_fp16_overflow 0
		.amdhsa_workgroup_processor_mode 1
		.amdhsa_memory_ordered 1
		.amdhsa_forward_progress 0
		.amdhsa_shared_vgpr_count 0
		.amdhsa_exception_fp_ieee_invalid_op 0
		.amdhsa_exception_fp_denorm_src 0
		.amdhsa_exception_fp_ieee_div_zero 0
		.amdhsa_exception_fp_ieee_overflow 0
		.amdhsa_exception_fp_ieee_underflow 0
		.amdhsa_exception_fp_ieee_inexact 0
		.amdhsa_exception_int_div_zero 0
	.end_amdhsa_kernel
	.section	.text._Z6kernelI6reduceILN6hipcub20BlockReduceAlgorithmE1EEdLj64ELj8ELj100EEvPKT0_PS4_,"axG",@progbits,_Z6kernelI6reduceILN6hipcub20BlockReduceAlgorithmE1EEdLj64ELj8ELj100EEvPKT0_PS4_,comdat
.Lfunc_end88:
	.size	_Z6kernelI6reduceILN6hipcub20BlockReduceAlgorithmE1EEdLj64ELj8ELj100EEvPKT0_PS4_, .Lfunc_end88-_Z6kernelI6reduceILN6hipcub20BlockReduceAlgorithmE1EEdLj64ELj8ELj100EEvPKT0_PS4_
                                        ; -- End function
	.section	.AMDGPU.csdata,"",@progbits
; Kernel info:
; codeLenInByte = 508
; NumSgprs: 18
; NumVgprs: 24
; ScratchSize: 0
; MemoryBound: 1
; FloatMode: 240
; IeeeMode: 1
; LDSByteSize: 512 bytes/workgroup (compile time only)
; SGPRBlocks: 2
; VGPRBlocks: 2
; NumSGPRsForWavesPerEU: 18
; NumVGPRsForWavesPerEU: 24
; Occupancy: 16
; WaveLimiterHint : 0
; COMPUTE_PGM_RSRC2:SCRATCH_EN: 0
; COMPUTE_PGM_RSRC2:USER_SGPR: 15
; COMPUTE_PGM_RSRC2:TRAP_HANDLER: 0
; COMPUTE_PGM_RSRC2:TGID_X_EN: 1
; COMPUTE_PGM_RSRC2:TGID_Y_EN: 0
; COMPUTE_PGM_RSRC2:TGID_Z_EN: 0
; COMPUTE_PGM_RSRC2:TIDIG_COMP_CNT: 0
	.section	.text._Z6kernelI6reduceILN6hipcub20BlockReduceAlgorithmE1EEdLj64ELj11ELj100EEvPKT0_PS4_,"axG",@progbits,_Z6kernelI6reduceILN6hipcub20BlockReduceAlgorithmE1EEdLj64ELj11ELj100EEvPKT0_PS4_,comdat
	.protected	_Z6kernelI6reduceILN6hipcub20BlockReduceAlgorithmE1EEdLj64ELj11ELj100EEvPKT0_PS4_ ; -- Begin function _Z6kernelI6reduceILN6hipcub20BlockReduceAlgorithmE1EEdLj64ELj11ELj100EEvPKT0_PS4_
	.globl	_Z6kernelI6reduceILN6hipcub20BlockReduceAlgorithmE1EEdLj64ELj11ELj100EEvPKT0_PS4_
	.p2align	8
	.type	_Z6kernelI6reduceILN6hipcub20BlockReduceAlgorithmE1EEdLj64ELj11ELj100EEvPKT0_PS4_,@function
_Z6kernelI6reduceILN6hipcub20BlockReduceAlgorithmE1EEdLj64ELj11ELj100EEvPKT0_PS4_: ; @_Z6kernelI6reduceILN6hipcub20BlockReduceAlgorithmE1EEdLj64ELj11ELj100EEvPKT0_PS4_
; %bb.0:
	s_load_b32 s2, s[0:1], 0x1c
	s_mov_b32 s4, s15
	s_waitcnt lgkmcnt(0)
	s_and_b32 s2, s2, 0xffff
	s_delay_alu instid0(SALU_CYCLE_1) | instskip(SKIP_1) | instid1(VALU_DEP_1)
	v_mad_u64_u32 v[1:2], null, s4, s2, v[0:1]
	s_load_b128 s[0:3], s[0:1], 0x0
	v_mul_lo_u32 v9, v1, 11
	s_delay_alu instid0(VALU_DEP_1) | instskip(NEXT) | instid1(VALU_DEP_1)
	v_dual_mov_b32 v10, 0 :: v_dual_add_nc_u32 v1, 1, v9
	v_dual_mov_b32 v2, v10 :: v_dual_add_nc_u32 v3, 2, v9
	v_lshlrev_b64 v[17:18], 3, v[9:10]
	v_dual_mov_b32 v4, v10 :: v_dual_add_nc_u32 v5, 3, v9
	s_delay_alu instid0(VALU_DEP_3) | instskip(SKIP_1) | instid1(VALU_DEP_3)
	v_lshlrev_b64 v[1:2], 3, v[1:2]
	v_dual_mov_b32 v6, v10 :: v_dual_add_nc_u32 v7, 4, v9
	v_lshlrev_b64 v[3:4], 3, v[3:4]
	s_waitcnt lgkmcnt(0)
	v_add_co_u32 v17, vcc_lo, s0, v17
	v_dual_mov_b32 v8, v10 :: v_dual_add_nc_u32 v11, 5, v9
	v_add_co_ci_u32_e32 v18, vcc_lo, s1, v18, vcc_lo
	v_lshlrev_b64 v[5:6], 3, v[5:6]
	v_add_co_u32 v1, vcc_lo, s0, v1
	v_dual_mov_b32 v12, v10 :: v_dual_add_nc_u32 v13, 6, v9
	v_add_co_ci_u32_e32 v2, vcc_lo, s1, v2, vcc_lo
	v_lshlrev_b64 v[7:8], 3, v[7:8]
	v_add_co_u32 v3, vcc_lo, s0, v3
	v_dual_mov_b32 v14, v10 :: v_dual_add_nc_u32 v15, 7, v9
	v_add_co_ci_u32_e32 v4, vcc_lo, s1, v4, vcc_lo
	v_add_co_u32 v5, vcc_lo, s0, v5
	v_lshlrev_b64 v[11:12], 3, v[11:12]
	v_mov_b32_e32 v16, v10
	v_add_co_ci_u32_e32 v6, vcc_lo, s1, v6, vcc_lo
	v_add_co_u32 v19, vcc_lo, s0, v7
	v_lshlrev_b64 v[13:14], 3, v[13:14]
	v_add_co_ci_u32_e32 v20, vcc_lo, s1, v8, vcc_lo
	s_clause 0x3
	global_load_b64 v[7:8], v[17:18], off
	global_load_b64 v[1:2], v[1:2], off
	;; [unrolled: 1-line block ×4, first 2 shown]
	v_dual_mov_b32 v18, v10 :: v_dual_add_nc_u32 v17, 8, v9
	v_add_nc_u32_e32 v21, 9, v9
	v_add_co_u32 v11, vcc_lo, s0, v11
	v_lshlrev_b64 v[15:16], 3, v[15:16]
	v_dual_mov_b32 v22, v10 :: v_dual_add_nc_u32 v9, 10, v9
	v_add_co_ci_u32_e32 v12, vcc_lo, s1, v12, vcc_lo
	v_add_co_u32 v13, vcc_lo, s0, v13
	v_lshlrev_b64 v[17:18], 3, v[17:18]
	v_add_co_ci_u32_e32 v14, vcc_lo, s1, v14, vcc_lo
	v_add_co_u32 v15, vcc_lo, s0, v15
	v_lshlrev_b64 v[21:22], 3, v[21:22]
	;; [unrolled: 3-line block ×3, first 2 shown]
	v_add_co_ci_u32_e32 v18, vcc_lo, s1, v18, vcc_lo
	v_add_co_u32 v21, vcc_lo, s0, v21
	v_add_co_ci_u32_e32 v22, vcc_lo, s1, v22, vcc_lo
	s_delay_alu instid0(VALU_DEP_4)
	v_add_co_u32 v23, vcc_lo, s0, v9
	v_add_co_ci_u32_e32 v24, vcc_lo, s1, v10, vcc_lo
	s_clause 0x6
	global_load_b64 v[9:10], v[19:20], off
	global_load_b64 v[11:12], v[11:12], off
	global_load_b64 v[13:14], v[13:14], off
	global_load_b64 v[15:16], v[15:16], off
	global_load_b64 v[17:18], v[17:18], off
	global_load_b64 v[19:20], v[21:22], off
	global_load_b64 v[21:22], v[23:24], off
	v_dual_mov_b32 v24, 0x7c :: v_dual_lshlrev_b32 v23, 2, v0
	s_movk_i32 s0, 0x64
	s_delay_alu instid0(VALU_DEP_1)
	v_add_nc_u32_e32 v25, v23, v23
.LBB89_1:                               ; =>This Inner Loop Header: Depth=1
	s_waitcnt vmcnt(9) lgkmcnt(0)
	v_add_f64 v[7:8], v[1:2], v[7:8]
	s_add_i32 s0, s0, -1
	s_delay_alu instid0(SALU_CYCLE_1) | instskip(SKIP_1) | instid1(VALU_DEP_1)
	s_cmp_eq_u32 s0, 0
	s_waitcnt vmcnt(8)
	v_add_f64 v[7:8], v[3:4], v[7:8]
	s_waitcnt vmcnt(7)
	s_delay_alu instid0(VALU_DEP_1) | instskip(SKIP_1) | instid1(VALU_DEP_1)
	v_add_f64 v[7:8], v[5:6], v[7:8]
	s_waitcnt vmcnt(6)
	v_add_f64 v[7:8], v[9:10], v[7:8]
	s_waitcnt vmcnt(5)
	s_delay_alu instid0(VALU_DEP_1) | instskip(SKIP_1) | instid1(VALU_DEP_1)
	v_add_f64 v[7:8], v[11:12], v[7:8]
	;; [unrolled: 5-line block ×4, first 2 shown]
	s_waitcnt vmcnt(0)
	v_add_f64 v[7:8], v[21:22], v[7:8]
	ds_store_2addr_stride64_b32 v23, v7, v8 offset1:1
	s_waitcnt lgkmcnt(0)
	s_barrier
	buffer_gl0_inv
	ds_load_2addr_b64 v[26:29], v25 offset1:32
	s_waitcnt lgkmcnt(0)
	v_dual_mov_b32 v7, v26 :: v_dual_mov_b32 v8, v28
	v_mov_b32_e32 v28, v29
	s_delay_alu instid0(VALU_DEP_1) | instskip(NEXT) | instid1(VALU_DEP_1)
	v_add_f64 v[7:8], v[7:8], v[27:28]
	v_mov_b32_dpp v26, v7 quad_perm:[1,0,3,2] row_mask:0xf bank_mask:0xf
	s_delay_alu instid0(VALU_DEP_2) | instskip(NEXT) | instid1(VALU_DEP_1)
	v_mov_b32_dpp v27, v8 quad_perm:[1,0,3,2] row_mask:0xf bank_mask:0xf
	v_add_f64 v[7:8], v[7:8], v[26:27]
	s_delay_alu instid0(VALU_DEP_1) | instskip(NEXT) | instid1(VALU_DEP_2)
	v_mov_b32_dpp v26, v7 quad_perm:[2,3,0,1] row_mask:0xf bank_mask:0xf
	v_mov_b32_dpp v27, v8 quad_perm:[2,3,0,1] row_mask:0xf bank_mask:0xf
	s_delay_alu instid0(VALU_DEP_1) | instskip(NEXT) | instid1(VALU_DEP_1)
	v_add_f64 v[7:8], v[7:8], v[26:27]
	v_mov_b32_dpp v26, v7 row_ror:4 row_mask:0xf bank_mask:0xf
	s_delay_alu instid0(VALU_DEP_2) | instskip(NEXT) | instid1(VALU_DEP_1)
	v_mov_b32_dpp v27, v8 row_ror:4 row_mask:0xf bank_mask:0xf
	v_add_f64 v[7:8], v[7:8], v[26:27]
	s_delay_alu instid0(VALU_DEP_1) | instskip(NEXT) | instid1(VALU_DEP_2)
	v_mov_b32_dpp v26, v7 row_ror:8 row_mask:0xf bank_mask:0xf
	v_mov_b32_dpp v27, v8 row_ror:8 row_mask:0xf bank_mask:0xf
	s_delay_alu instid0(VALU_DEP_1)
	v_add_f64 v[7:8], v[7:8], v[26:27]
	ds_swizzle_b32 v26, v7 offset:swizzle(BROADCAST,32,15)
	ds_swizzle_b32 v27, v8 offset:swizzle(BROADCAST,32,15)
	s_waitcnt lgkmcnt(0)
	v_add_f64 v[7:8], v[7:8], v[26:27]
	ds_bpermute_b32 v7, v24, v7
	ds_bpermute_b32 v8, v24, v8
	s_cbranch_scc0 .LBB89_1
; %bb.2:
	s_mov_b32 s5, 0
	s_mov_b32 s0, exec_lo
	v_cmpx_eq_u32_e32 0, v0
	s_cbranch_execz .LBB89_4
; %bb.3:
	s_lshl_b64 s[0:1], s[4:5], 3
	v_mov_b32_e32 v0, 0
	s_add_u32 s0, s2, s0
	s_addc_u32 s1, s3, s1
	s_waitcnt lgkmcnt(0)
	global_store_b64 v0, v[7:8], s[0:1]
.LBB89_4:
	s_nop 0
	s_sendmsg sendmsg(MSG_DEALLOC_VGPRS)
	s_endpgm
	.section	.rodata,"a",@progbits
	.p2align	6, 0x0
	.amdhsa_kernel _Z6kernelI6reduceILN6hipcub20BlockReduceAlgorithmE1EEdLj64ELj11ELj100EEvPKT0_PS4_
		.amdhsa_group_segment_fixed_size 512
		.amdhsa_private_segment_fixed_size 0
		.amdhsa_kernarg_size 272
		.amdhsa_user_sgpr_count 15
		.amdhsa_user_sgpr_dispatch_ptr 0
		.amdhsa_user_sgpr_queue_ptr 0
		.amdhsa_user_sgpr_kernarg_segment_ptr 1
		.amdhsa_user_sgpr_dispatch_id 0
		.amdhsa_user_sgpr_private_segment_size 0
		.amdhsa_wavefront_size32 1
		.amdhsa_uses_dynamic_stack 0
		.amdhsa_enable_private_segment 0
		.amdhsa_system_sgpr_workgroup_id_x 1
		.amdhsa_system_sgpr_workgroup_id_y 0
		.amdhsa_system_sgpr_workgroup_id_z 0
		.amdhsa_system_sgpr_workgroup_info 0
		.amdhsa_system_vgpr_workitem_id 0
		.amdhsa_next_free_vgpr 30
		.amdhsa_next_free_sgpr 16
		.amdhsa_reserve_vcc 1
		.amdhsa_float_round_mode_32 0
		.amdhsa_float_round_mode_16_64 0
		.amdhsa_float_denorm_mode_32 3
		.amdhsa_float_denorm_mode_16_64 3
		.amdhsa_dx10_clamp 1
		.amdhsa_ieee_mode 1
		.amdhsa_fp16_overflow 0
		.amdhsa_workgroup_processor_mode 1
		.amdhsa_memory_ordered 1
		.amdhsa_forward_progress 0
		.amdhsa_shared_vgpr_count 0
		.amdhsa_exception_fp_ieee_invalid_op 0
		.amdhsa_exception_fp_denorm_src 0
		.amdhsa_exception_fp_ieee_div_zero 0
		.amdhsa_exception_fp_ieee_overflow 0
		.amdhsa_exception_fp_ieee_underflow 0
		.amdhsa_exception_fp_ieee_inexact 0
		.amdhsa_exception_int_div_zero 0
	.end_amdhsa_kernel
	.section	.text._Z6kernelI6reduceILN6hipcub20BlockReduceAlgorithmE1EEdLj64ELj11ELj100EEvPKT0_PS4_,"axG",@progbits,_Z6kernelI6reduceILN6hipcub20BlockReduceAlgorithmE1EEdLj64ELj11ELj100EEvPKT0_PS4_,comdat
.Lfunc_end89:
	.size	_Z6kernelI6reduceILN6hipcub20BlockReduceAlgorithmE1EEdLj64ELj11ELj100EEvPKT0_PS4_, .Lfunc_end89-_Z6kernelI6reduceILN6hipcub20BlockReduceAlgorithmE1EEdLj64ELj11ELj100EEvPKT0_PS4_
                                        ; -- End function
	.section	.AMDGPU.csdata,"",@progbits
; Kernel info:
; codeLenInByte = 920
; NumSgprs: 18
; NumVgprs: 30
; ScratchSize: 0
; MemoryBound: 0
; FloatMode: 240
; IeeeMode: 1
; LDSByteSize: 512 bytes/workgroup (compile time only)
; SGPRBlocks: 2
; VGPRBlocks: 3
; NumSGPRsForWavesPerEU: 18
; NumVGPRsForWavesPerEU: 30
; Occupancy: 16
; WaveLimiterHint : 0
; COMPUTE_PGM_RSRC2:SCRATCH_EN: 0
; COMPUTE_PGM_RSRC2:USER_SGPR: 15
; COMPUTE_PGM_RSRC2:TRAP_HANDLER: 0
; COMPUTE_PGM_RSRC2:TGID_X_EN: 1
; COMPUTE_PGM_RSRC2:TGID_Y_EN: 0
; COMPUTE_PGM_RSRC2:TGID_Z_EN: 0
; COMPUTE_PGM_RSRC2:TIDIG_COMP_CNT: 0
	.section	.text._Z6kernelI6reduceILN6hipcub20BlockReduceAlgorithmE1EEdLj64ELj16ELj100EEvPKT0_PS4_,"axG",@progbits,_Z6kernelI6reduceILN6hipcub20BlockReduceAlgorithmE1EEdLj64ELj16ELj100EEvPKT0_PS4_,comdat
	.protected	_Z6kernelI6reduceILN6hipcub20BlockReduceAlgorithmE1EEdLj64ELj16ELj100EEvPKT0_PS4_ ; -- Begin function _Z6kernelI6reduceILN6hipcub20BlockReduceAlgorithmE1EEdLj64ELj16ELj100EEvPKT0_PS4_
	.globl	_Z6kernelI6reduceILN6hipcub20BlockReduceAlgorithmE1EEdLj64ELj16ELj100EEvPKT0_PS4_
	.p2align	8
	.type	_Z6kernelI6reduceILN6hipcub20BlockReduceAlgorithmE1EEdLj64ELj16ELj100EEvPKT0_PS4_,@function
_Z6kernelI6reduceILN6hipcub20BlockReduceAlgorithmE1EEdLj64ELj16ELj100EEvPKT0_PS4_: ; @_Z6kernelI6reduceILN6hipcub20BlockReduceAlgorithmE1EEdLj64ELj16ELj100EEvPKT0_PS4_
; %bb.0:
	s_clause 0x1
	s_load_b32 s5, s[0:1], 0x1c
	s_load_b128 s[0:3], s[0:1], 0x0
	v_dual_mov_b32 v2, 0 :: v_dual_lshlrev_b32 v33, 2, v0
	v_mov_b32_e32 v34, 0x7c
	s_mov_b32 s4, s15
	s_delay_alu instid0(VALU_DEP_2) | instskip(SKIP_2) | instid1(SALU_CYCLE_1)
	v_add_nc_u32_e32 v35, v33, v33
	s_waitcnt lgkmcnt(0)
	s_and_b32 s5, s5, 0xffff
	s_mul_i32 s5, s15, s5
	s_delay_alu instid0(SALU_CYCLE_1) | instskip(NEXT) | instid1(VALU_DEP_1)
	v_add_lshl_u32 v1, s5, v0, 4
	v_lshlrev_b64 v[1:2], 3, v[1:2]
	s_delay_alu instid0(VALU_DEP_1) | instskip(NEXT) | instid1(VALU_DEP_2)
	v_add_co_u32 v29, vcc_lo, s0, v1
	v_add_co_ci_u32_e32 v30, vcc_lo, s1, v2, vcc_lo
	s_movk_i32 s0, 0x64
	s_clause 0x7
	global_load_b128 v[5:8], v[29:30], off offset:48
	global_load_b128 v[9:12], v[29:30], off offset:32
	;; [unrolled: 1-line block ×3, first 2 shown]
	global_load_b128 v[1:4], v[29:30], off
	global_load_b128 v[17:20], v[29:30], off offset:112
	global_load_b128 v[21:24], v[29:30], off offset:96
	;; [unrolled: 1-line block ×4, first 2 shown]
.LBB90_1:                               ; =>This Inner Loop Header: Depth=1
	s_waitcnt vmcnt(4) lgkmcnt(0)
	v_add_f64 v[1:2], v[3:4], v[1:2]
	s_add_i32 s0, s0, -1
	s_delay_alu instid0(SALU_CYCLE_1) | instskip(NEXT) | instid1(VALU_DEP_1)
	s_cmp_eq_u32 s0, 0
	v_add_f64 v[1:2], v[13:14], v[1:2]
	s_delay_alu instid0(VALU_DEP_1) | instskip(NEXT) | instid1(VALU_DEP_1)
	v_add_f64 v[1:2], v[15:16], v[1:2]
	v_add_f64 v[1:2], v[9:10], v[1:2]
	s_delay_alu instid0(VALU_DEP_1) | instskip(NEXT) | instid1(VALU_DEP_1)
	v_add_f64 v[1:2], v[11:12], v[1:2]
	v_add_f64 v[1:2], v[5:6], v[1:2]
	s_delay_alu instid0(VALU_DEP_1) | instskip(SKIP_1) | instid1(VALU_DEP_1)
	v_add_f64 v[1:2], v[7:8], v[1:2]
	s_waitcnt vmcnt(0)
	v_add_f64 v[1:2], v[29:30], v[1:2]
	s_delay_alu instid0(VALU_DEP_1) | instskip(NEXT) | instid1(VALU_DEP_1)
	v_add_f64 v[1:2], v[31:32], v[1:2]
	v_add_f64 v[1:2], v[25:26], v[1:2]
	s_delay_alu instid0(VALU_DEP_1) | instskip(NEXT) | instid1(VALU_DEP_1)
	v_add_f64 v[1:2], v[27:28], v[1:2]
	;; [unrolled: 3-line block ×3, first 2 shown]
	v_add_f64 v[1:2], v[17:18], v[1:2]
	s_delay_alu instid0(VALU_DEP_1)
	v_add_f64 v[1:2], v[19:20], v[1:2]
	ds_store_2addr_stride64_b32 v33, v1, v2 offset1:1
	s_waitcnt lgkmcnt(0)
	s_barrier
	buffer_gl0_inv
	ds_load_2addr_b64 v[36:39], v35 offset1:32
	s_waitcnt lgkmcnt(0)
	v_dual_mov_b32 v1, v36 :: v_dual_mov_b32 v2, v38
	v_mov_b32_e32 v38, v39
	s_delay_alu instid0(VALU_DEP_1) | instskip(NEXT) | instid1(VALU_DEP_1)
	v_add_f64 v[1:2], v[1:2], v[37:38]
	v_mov_b32_dpp v36, v1 quad_perm:[1,0,3,2] row_mask:0xf bank_mask:0xf
	s_delay_alu instid0(VALU_DEP_2) | instskip(NEXT) | instid1(VALU_DEP_1)
	v_mov_b32_dpp v37, v2 quad_perm:[1,0,3,2] row_mask:0xf bank_mask:0xf
	v_add_f64 v[1:2], v[1:2], v[36:37]
	s_delay_alu instid0(VALU_DEP_1) | instskip(NEXT) | instid1(VALU_DEP_2)
	v_mov_b32_dpp v36, v1 quad_perm:[2,3,0,1] row_mask:0xf bank_mask:0xf
	v_mov_b32_dpp v37, v2 quad_perm:[2,3,0,1] row_mask:0xf bank_mask:0xf
	s_delay_alu instid0(VALU_DEP_1) | instskip(NEXT) | instid1(VALU_DEP_1)
	v_add_f64 v[1:2], v[1:2], v[36:37]
	v_mov_b32_dpp v36, v1 row_ror:4 row_mask:0xf bank_mask:0xf
	s_delay_alu instid0(VALU_DEP_2) | instskip(NEXT) | instid1(VALU_DEP_1)
	v_mov_b32_dpp v37, v2 row_ror:4 row_mask:0xf bank_mask:0xf
	v_add_f64 v[1:2], v[1:2], v[36:37]
	s_delay_alu instid0(VALU_DEP_1) | instskip(NEXT) | instid1(VALU_DEP_2)
	v_mov_b32_dpp v36, v1 row_ror:8 row_mask:0xf bank_mask:0xf
	v_mov_b32_dpp v37, v2 row_ror:8 row_mask:0xf bank_mask:0xf
	s_delay_alu instid0(VALU_DEP_1)
	v_add_f64 v[1:2], v[1:2], v[36:37]
	ds_swizzle_b32 v36, v1 offset:swizzle(BROADCAST,32,15)
	ds_swizzle_b32 v37, v2 offset:swizzle(BROADCAST,32,15)
	s_waitcnt lgkmcnt(0)
	v_add_f64 v[1:2], v[1:2], v[36:37]
	ds_bpermute_b32 v1, v34, v1
	ds_bpermute_b32 v2, v34, v2
	s_cbranch_scc0 .LBB90_1
; %bb.2:
	s_mov_b32 s5, 0
	s_mov_b32 s0, exec_lo
	v_cmpx_eq_u32_e32 0, v0
	s_cbranch_execz .LBB90_4
; %bb.3:
	s_lshl_b64 s[0:1], s[4:5], 3
	v_mov_b32_e32 v0, 0
	s_add_u32 s0, s2, s0
	s_addc_u32 s1, s3, s1
	s_waitcnt lgkmcnt(0)
	global_store_b64 v0, v[1:2], s[0:1]
.LBB90_4:
	s_nop 0
	s_sendmsg sendmsg(MSG_DEALLOC_VGPRS)
	s_endpgm
	.section	.rodata,"a",@progbits
	.p2align	6, 0x0
	.amdhsa_kernel _Z6kernelI6reduceILN6hipcub20BlockReduceAlgorithmE1EEdLj64ELj16ELj100EEvPKT0_PS4_
		.amdhsa_group_segment_fixed_size 512
		.amdhsa_private_segment_fixed_size 0
		.amdhsa_kernarg_size 272
		.amdhsa_user_sgpr_count 15
		.amdhsa_user_sgpr_dispatch_ptr 0
		.amdhsa_user_sgpr_queue_ptr 0
		.amdhsa_user_sgpr_kernarg_segment_ptr 1
		.amdhsa_user_sgpr_dispatch_id 0
		.amdhsa_user_sgpr_private_segment_size 0
		.amdhsa_wavefront_size32 1
		.amdhsa_uses_dynamic_stack 0
		.amdhsa_enable_private_segment 0
		.amdhsa_system_sgpr_workgroup_id_x 1
		.amdhsa_system_sgpr_workgroup_id_y 0
		.amdhsa_system_sgpr_workgroup_id_z 0
		.amdhsa_system_sgpr_workgroup_info 0
		.amdhsa_system_vgpr_workitem_id 0
		.amdhsa_next_free_vgpr 40
		.amdhsa_next_free_sgpr 16
		.amdhsa_reserve_vcc 1
		.amdhsa_float_round_mode_32 0
		.amdhsa_float_round_mode_16_64 0
		.amdhsa_float_denorm_mode_32 3
		.amdhsa_float_denorm_mode_16_64 3
		.amdhsa_dx10_clamp 1
		.amdhsa_ieee_mode 1
		.amdhsa_fp16_overflow 0
		.amdhsa_workgroup_processor_mode 1
		.amdhsa_memory_ordered 1
		.amdhsa_forward_progress 0
		.amdhsa_shared_vgpr_count 0
		.amdhsa_exception_fp_ieee_invalid_op 0
		.amdhsa_exception_fp_denorm_src 0
		.amdhsa_exception_fp_ieee_div_zero 0
		.amdhsa_exception_fp_ieee_overflow 0
		.amdhsa_exception_fp_ieee_underflow 0
		.amdhsa_exception_fp_ieee_inexact 0
		.amdhsa_exception_int_div_zero 0
	.end_amdhsa_kernel
	.section	.text._Z6kernelI6reduceILN6hipcub20BlockReduceAlgorithmE1EEdLj64ELj16ELj100EEvPKT0_PS4_,"axG",@progbits,_Z6kernelI6reduceILN6hipcub20BlockReduceAlgorithmE1EEdLj64ELj16ELj100EEvPKT0_PS4_,comdat
.Lfunc_end90:
	.size	_Z6kernelI6reduceILN6hipcub20BlockReduceAlgorithmE1EEdLj64ELj16ELj100EEvPKT0_PS4_, .Lfunc_end90-_Z6kernelI6reduceILN6hipcub20BlockReduceAlgorithmE1EEdLj64ELj16ELj100EEvPKT0_PS4_
                                        ; -- End function
	.section	.AMDGPU.csdata,"",@progbits
; Kernel info:
; codeLenInByte = 624
; NumSgprs: 18
; NumVgprs: 40
; ScratchSize: 0
; MemoryBound: 1
; FloatMode: 240
; IeeeMode: 1
; LDSByteSize: 512 bytes/workgroup (compile time only)
; SGPRBlocks: 2
; VGPRBlocks: 4
; NumSGPRsForWavesPerEU: 18
; NumVGPRsForWavesPerEU: 40
; Occupancy: 16
; WaveLimiterHint : 0
; COMPUTE_PGM_RSRC2:SCRATCH_EN: 0
; COMPUTE_PGM_RSRC2:USER_SGPR: 15
; COMPUTE_PGM_RSRC2:TRAP_HANDLER: 0
; COMPUTE_PGM_RSRC2:TGID_X_EN: 1
; COMPUTE_PGM_RSRC2:TGID_Y_EN: 0
; COMPUTE_PGM_RSRC2:TGID_Z_EN: 0
; COMPUTE_PGM_RSRC2:TIDIG_COMP_CNT: 0
	.section	.text._Z6kernelI6reduceILN6hipcub20BlockReduceAlgorithmE1EEaLj64ELj1ELj100EEvPKT0_PS4_,"axG",@progbits,_Z6kernelI6reduceILN6hipcub20BlockReduceAlgorithmE1EEaLj64ELj1ELj100EEvPKT0_PS4_,comdat
	.protected	_Z6kernelI6reduceILN6hipcub20BlockReduceAlgorithmE1EEaLj64ELj1ELj100EEvPKT0_PS4_ ; -- Begin function _Z6kernelI6reduceILN6hipcub20BlockReduceAlgorithmE1EEaLj64ELj1ELj100EEvPKT0_PS4_
	.globl	_Z6kernelI6reduceILN6hipcub20BlockReduceAlgorithmE1EEaLj64ELj1ELj100EEvPKT0_PS4_
	.p2align	8
	.type	_Z6kernelI6reduceILN6hipcub20BlockReduceAlgorithmE1EEaLj64ELj1ELj100EEvPKT0_PS4_,@function
_Z6kernelI6reduceILN6hipcub20BlockReduceAlgorithmE1EEaLj64ELj1ELj100EEvPKT0_PS4_: ; @_Z6kernelI6reduceILN6hipcub20BlockReduceAlgorithmE1EEaLj64ELj1ELj100EEvPKT0_PS4_
; %bb.0:
	s_clause 0x1
	s_load_b32 s4, s[0:1], 0x1c
	s_load_b128 s[0:3], s[0:1], 0x0
	s_waitcnt lgkmcnt(0)
	s_and_b32 s4, s4, 0xffff
	s_delay_alu instid0(SALU_CYCLE_1)
	v_mad_u64_u32 v[1:2], null, s15, s4, v[0:1]
	v_add_nc_u32_e32 v2, v0, v0
	global_load_u8 v3, v1, s[0:1]
	v_mov_b32_e32 v1, 0x7c
	s_movk_i32 s0, 0x64
	s_set_inst_prefetch_distance 0x1
	.p2align	6
.LBB91_1:                               ; =>This Inner Loop Header: Depth=1
	s_waitcnt vmcnt(0) lgkmcnt(0)
	ds_store_b8 v0, v3
	s_waitcnt lgkmcnt(0)
	s_barrier
	buffer_gl0_inv
	ds_load_u16 v3, v2
	s_add_i32 s0, s0, -1
	s_delay_alu instid0(SALU_CYCLE_1) | instskip(SKIP_2) | instid1(VALU_DEP_1)
	s_cmp_eq_u32 s0, 0
	s_waitcnt lgkmcnt(0)
	v_lshrrev_b16 v4, 8, v3
	v_add_nc_u16 v3, v4, v3
	s_delay_alu instid0(VALU_DEP_1) | instskip(NEXT) | instid1(VALU_DEP_1)
	v_and_b32_e32 v4, 0xff, v3
	v_mov_b32_dpp v4, v4 quad_perm:[1,0,3,2] row_mask:0xf bank_mask:0xf
	s_delay_alu instid0(VALU_DEP_1) | instskip(NEXT) | instid1(VALU_DEP_1)
	v_add_nc_u16 v3, v3, v4
	v_and_b32_e32 v4, 0xff, v3
	s_delay_alu instid0(VALU_DEP_1) | instskip(NEXT) | instid1(VALU_DEP_1)
	v_mov_b32_dpp v4, v4 quad_perm:[2,3,0,1] row_mask:0xf bank_mask:0xf
	v_add_nc_u16 v3, v3, v4
	s_delay_alu instid0(VALU_DEP_1) | instskip(NEXT) | instid1(VALU_DEP_1)
	v_and_b32_e32 v4, 0xff, v3
	v_mov_b32_dpp v4, v4 row_ror:4 row_mask:0xf bank_mask:0xf
	s_delay_alu instid0(VALU_DEP_1) | instskip(NEXT) | instid1(VALU_DEP_1)
	v_add_nc_u16 v3, v3, v4
	v_and_b32_e32 v4, 0xff, v3
	s_delay_alu instid0(VALU_DEP_1) | instskip(NEXT) | instid1(VALU_DEP_1)
	v_mov_b32_dpp v4, v4 row_ror:8 row_mask:0xf bank_mask:0xf
	v_add_nc_u16 v3, v3, v4
	s_delay_alu instid0(VALU_DEP_1) | instskip(SKIP_3) | instid1(VALU_DEP_1)
	v_and_b32_e32 v4, 0xff, v3
	ds_swizzle_b32 v4, v4 offset:swizzle(BROADCAST,32,15)
	s_waitcnt lgkmcnt(0)
	v_add_nc_u16 v3, v3, v4
	v_and_b32_e32 v3, 0xff, v3
	ds_bpermute_b32 v3, v1, v3
	s_cbranch_scc0 .LBB91_1
; %bb.2:
	s_set_inst_prefetch_distance 0x2
	s_mov_b32 s0, exec_lo
	v_cmpx_eq_u32_e32 0, v0
	s_cbranch_execz .LBB91_4
; %bb.3:
	v_mov_b32_e32 v0, s15
	s_waitcnt lgkmcnt(0)
	global_store_b8 v0, v3, s[2:3]
.LBB91_4:
	s_nop 0
	s_sendmsg sendmsg(MSG_DEALLOC_VGPRS)
	s_endpgm
	.section	.rodata,"a",@progbits
	.p2align	6, 0x0
	.amdhsa_kernel _Z6kernelI6reduceILN6hipcub20BlockReduceAlgorithmE1EEaLj64ELj1ELj100EEvPKT0_PS4_
		.amdhsa_group_segment_fixed_size 64
		.amdhsa_private_segment_fixed_size 0
		.amdhsa_kernarg_size 272
		.amdhsa_user_sgpr_count 15
		.amdhsa_user_sgpr_dispatch_ptr 0
		.amdhsa_user_sgpr_queue_ptr 0
		.amdhsa_user_sgpr_kernarg_segment_ptr 1
		.amdhsa_user_sgpr_dispatch_id 0
		.amdhsa_user_sgpr_private_segment_size 0
		.amdhsa_wavefront_size32 1
		.amdhsa_uses_dynamic_stack 0
		.amdhsa_enable_private_segment 0
		.amdhsa_system_sgpr_workgroup_id_x 1
		.amdhsa_system_sgpr_workgroup_id_y 0
		.amdhsa_system_sgpr_workgroup_id_z 0
		.amdhsa_system_sgpr_workgroup_info 0
		.amdhsa_system_vgpr_workitem_id 0
		.amdhsa_next_free_vgpr 5
		.amdhsa_next_free_sgpr 16
		.amdhsa_reserve_vcc 0
		.amdhsa_float_round_mode_32 0
		.amdhsa_float_round_mode_16_64 0
		.amdhsa_float_denorm_mode_32 3
		.amdhsa_float_denorm_mode_16_64 3
		.amdhsa_dx10_clamp 1
		.amdhsa_ieee_mode 1
		.amdhsa_fp16_overflow 0
		.amdhsa_workgroup_processor_mode 1
		.amdhsa_memory_ordered 1
		.amdhsa_forward_progress 0
		.amdhsa_shared_vgpr_count 0
		.amdhsa_exception_fp_ieee_invalid_op 0
		.amdhsa_exception_fp_denorm_src 0
		.amdhsa_exception_fp_ieee_div_zero 0
		.amdhsa_exception_fp_ieee_overflow 0
		.amdhsa_exception_fp_ieee_underflow 0
		.amdhsa_exception_fp_ieee_inexact 0
		.amdhsa_exception_int_div_zero 0
	.end_amdhsa_kernel
	.section	.text._Z6kernelI6reduceILN6hipcub20BlockReduceAlgorithmE1EEaLj64ELj1ELj100EEvPKT0_PS4_,"axG",@progbits,_Z6kernelI6reduceILN6hipcub20BlockReduceAlgorithmE1EEaLj64ELj1ELj100EEvPKT0_PS4_,comdat
.Lfunc_end91:
	.size	_Z6kernelI6reduceILN6hipcub20BlockReduceAlgorithmE1EEaLj64ELj1ELj100EEvPKT0_PS4_, .Lfunc_end91-_Z6kernelI6reduceILN6hipcub20BlockReduceAlgorithmE1EEaLj64ELj1ELj100EEvPKT0_PS4_
                                        ; -- End function
	.section	.AMDGPU.csdata,"",@progbits
; Kernel info:
; codeLenInByte = 356
; NumSgprs: 16
; NumVgprs: 5
; ScratchSize: 0
; MemoryBound: 0
; FloatMode: 240
; IeeeMode: 1
; LDSByteSize: 64 bytes/workgroup (compile time only)
; SGPRBlocks: 1
; VGPRBlocks: 0
; NumSGPRsForWavesPerEU: 16
; NumVGPRsForWavesPerEU: 5
; Occupancy: 16
; WaveLimiterHint : 0
; COMPUTE_PGM_RSRC2:SCRATCH_EN: 0
; COMPUTE_PGM_RSRC2:USER_SGPR: 15
; COMPUTE_PGM_RSRC2:TRAP_HANDLER: 0
; COMPUTE_PGM_RSRC2:TGID_X_EN: 1
; COMPUTE_PGM_RSRC2:TGID_Y_EN: 0
; COMPUTE_PGM_RSRC2:TGID_Z_EN: 0
; COMPUTE_PGM_RSRC2:TIDIG_COMP_CNT: 0
	.section	.text._Z6kernelI6reduceILN6hipcub20BlockReduceAlgorithmE1EEaLj64ELj2ELj100EEvPKT0_PS4_,"axG",@progbits,_Z6kernelI6reduceILN6hipcub20BlockReduceAlgorithmE1EEaLj64ELj2ELj100EEvPKT0_PS4_,comdat
	.protected	_Z6kernelI6reduceILN6hipcub20BlockReduceAlgorithmE1EEaLj64ELj2ELj100EEvPKT0_PS4_ ; -- Begin function _Z6kernelI6reduceILN6hipcub20BlockReduceAlgorithmE1EEaLj64ELj2ELj100EEvPKT0_PS4_
	.globl	_Z6kernelI6reduceILN6hipcub20BlockReduceAlgorithmE1EEaLj64ELj2ELj100EEvPKT0_PS4_
	.p2align	8
	.type	_Z6kernelI6reduceILN6hipcub20BlockReduceAlgorithmE1EEaLj64ELj2ELj100EEvPKT0_PS4_,@function
_Z6kernelI6reduceILN6hipcub20BlockReduceAlgorithmE1EEaLj64ELj2ELj100EEvPKT0_PS4_: ; @_Z6kernelI6reduceILN6hipcub20BlockReduceAlgorithmE1EEaLj64ELj2ELj100EEvPKT0_PS4_
; %bb.0:
	s_clause 0x1
	s_load_b32 s4, s[0:1], 0x1c
	s_load_b128 s[0:3], s[0:1], 0x0
	v_add_nc_u32_e32 v2, v0, v0
	s_waitcnt lgkmcnt(0)
	s_and_b32 s4, s4, 0xffff
	s_delay_alu instid0(SALU_CYCLE_1) | instskip(NEXT) | instid1(SALU_CYCLE_1)
	s_mul_i32 s4, s15, s4
	v_add_lshl_u32 v1, s4, v0, 1
	global_load_u16 v3, v1, s[0:1]
	v_mov_b32_e32 v1, 0x7c
	s_movk_i32 s0, 0x64
.LBB92_1:                               ; =>This Inner Loop Header: Depth=1
	s_waitcnt vmcnt(0)
	s_delay_alu instid0(VALU_DEP_1) | instskip(SKIP_1) | instid1(SALU_CYCLE_1)
	v_lshrrev_b16 v4, 8, v3
	s_add_i32 s0, s0, -1
	s_cmp_eq_u32 s0, 0
	s_delay_alu instid0(VALU_DEP_1)
	v_add_nc_u16 v4, v4, v3
	v_and_b32_e32 v3, 0xffffff00, v3
	ds_store_b8 v0, v4
	s_waitcnt lgkmcnt(0)
	s_barrier
	buffer_gl0_inv
	ds_load_u16 v4, v2
	s_waitcnt lgkmcnt(0)
	v_lshrrev_b16 v5, 8, v4
	s_delay_alu instid0(VALU_DEP_1) | instskip(NEXT) | instid1(VALU_DEP_1)
	v_add_nc_u16 v4, v5, v4
	v_and_b32_e32 v5, 0xff, v4
	s_delay_alu instid0(VALU_DEP_1) | instskip(NEXT) | instid1(VALU_DEP_1)
	v_mov_b32_dpp v5, v5 quad_perm:[1,0,3,2] row_mask:0xf bank_mask:0xf
	v_add_nc_u16 v4, v4, v5
	s_delay_alu instid0(VALU_DEP_1) | instskip(NEXT) | instid1(VALU_DEP_1)
	v_and_b32_e32 v5, 0xff, v4
	v_mov_b32_dpp v5, v5 quad_perm:[2,3,0,1] row_mask:0xf bank_mask:0xf
	s_delay_alu instid0(VALU_DEP_1) | instskip(NEXT) | instid1(VALU_DEP_1)
	v_add_nc_u16 v4, v4, v5
	v_and_b32_e32 v5, 0xff, v4
	s_delay_alu instid0(VALU_DEP_1) | instskip(NEXT) | instid1(VALU_DEP_1)
	v_mov_b32_dpp v5, v5 row_ror:4 row_mask:0xf bank_mask:0xf
	v_add_nc_u16 v4, v4, v5
	s_delay_alu instid0(VALU_DEP_1) | instskip(NEXT) | instid1(VALU_DEP_1)
	v_and_b32_e32 v5, 0xff, v4
	v_mov_b32_dpp v5, v5 row_ror:8 row_mask:0xf bank_mask:0xf
	s_delay_alu instid0(VALU_DEP_1) | instskip(NEXT) | instid1(VALU_DEP_1)
	v_add_nc_u16 v4, v4, v5
	v_and_b32_e32 v5, 0xff, v4
	ds_swizzle_b32 v5, v5 offset:swizzle(BROADCAST,32,15)
	s_waitcnt lgkmcnt(0)
	v_add_nc_u16 v4, v4, v5
	s_delay_alu instid0(VALU_DEP_1) | instskip(SKIP_3) | instid1(VALU_DEP_1)
	v_and_b32_e32 v4, 0xff, v4
	ds_bpermute_b32 v4, v1, v4
	s_waitcnt lgkmcnt(0)
	v_and_b32_e32 v5, 0xff, v4
	v_or_b32_e32 v3, v5, v3
	s_delay_alu instid0(VALU_DEP_1)
	v_and_b32_e32 v3, 0xffff, v3
	s_cbranch_scc0 .LBB92_1
; %bb.2:
	s_mov_b32 s0, exec_lo
	v_cmpx_eq_u32_e32 0, v0
	s_cbranch_execz .LBB92_4
; %bb.3:
	v_mov_b32_e32 v0, s15
	global_store_b8 v0, v4, s[2:3]
.LBB92_4:
	s_nop 0
	s_sendmsg sendmsg(MSG_DEALLOC_VGPRS)
	s_endpgm
	.section	.rodata,"a",@progbits
	.p2align	6, 0x0
	.amdhsa_kernel _Z6kernelI6reduceILN6hipcub20BlockReduceAlgorithmE1EEaLj64ELj2ELj100EEvPKT0_PS4_
		.amdhsa_group_segment_fixed_size 64
		.amdhsa_private_segment_fixed_size 0
		.amdhsa_kernarg_size 272
		.amdhsa_user_sgpr_count 15
		.amdhsa_user_sgpr_dispatch_ptr 0
		.amdhsa_user_sgpr_queue_ptr 0
		.amdhsa_user_sgpr_kernarg_segment_ptr 1
		.amdhsa_user_sgpr_dispatch_id 0
		.amdhsa_user_sgpr_private_segment_size 0
		.amdhsa_wavefront_size32 1
		.amdhsa_uses_dynamic_stack 0
		.amdhsa_enable_private_segment 0
		.amdhsa_system_sgpr_workgroup_id_x 1
		.amdhsa_system_sgpr_workgroup_id_y 0
		.amdhsa_system_sgpr_workgroup_id_z 0
		.amdhsa_system_sgpr_workgroup_info 0
		.amdhsa_system_vgpr_workitem_id 0
		.amdhsa_next_free_vgpr 6
		.amdhsa_next_free_sgpr 16
		.amdhsa_reserve_vcc 0
		.amdhsa_float_round_mode_32 0
		.amdhsa_float_round_mode_16_64 0
		.amdhsa_float_denorm_mode_32 3
		.amdhsa_float_denorm_mode_16_64 3
		.amdhsa_dx10_clamp 1
		.amdhsa_ieee_mode 1
		.amdhsa_fp16_overflow 0
		.amdhsa_workgroup_processor_mode 1
		.amdhsa_memory_ordered 1
		.amdhsa_forward_progress 0
		.amdhsa_shared_vgpr_count 0
		.amdhsa_exception_fp_ieee_invalid_op 0
		.amdhsa_exception_fp_denorm_src 0
		.amdhsa_exception_fp_ieee_div_zero 0
		.amdhsa_exception_fp_ieee_overflow 0
		.amdhsa_exception_fp_ieee_underflow 0
		.amdhsa_exception_fp_ieee_inexact 0
		.amdhsa_exception_int_div_zero 0
	.end_amdhsa_kernel
	.section	.text._Z6kernelI6reduceILN6hipcub20BlockReduceAlgorithmE1EEaLj64ELj2ELj100EEvPKT0_PS4_,"axG",@progbits,_Z6kernelI6reduceILN6hipcub20BlockReduceAlgorithmE1EEaLj64ELj2ELj100EEvPKT0_PS4_,comdat
.Lfunc_end92:
	.size	_Z6kernelI6reduceILN6hipcub20BlockReduceAlgorithmE1EEaLj64ELj2ELj100EEvPKT0_PS4_, .Lfunc_end92-_Z6kernelI6reduceILN6hipcub20BlockReduceAlgorithmE1EEaLj64ELj2ELj100EEvPKT0_PS4_
                                        ; -- End function
	.section	.AMDGPU.csdata,"",@progbits
; Kernel info:
; codeLenInByte = 408
; NumSgprs: 16
; NumVgprs: 6
; ScratchSize: 0
; MemoryBound: 0
; FloatMode: 240
; IeeeMode: 1
; LDSByteSize: 64 bytes/workgroup (compile time only)
; SGPRBlocks: 1
; VGPRBlocks: 0
; NumSGPRsForWavesPerEU: 16
; NumVGPRsForWavesPerEU: 6
; Occupancy: 16
; WaveLimiterHint : 0
; COMPUTE_PGM_RSRC2:SCRATCH_EN: 0
; COMPUTE_PGM_RSRC2:USER_SGPR: 15
; COMPUTE_PGM_RSRC2:TRAP_HANDLER: 0
; COMPUTE_PGM_RSRC2:TGID_X_EN: 1
; COMPUTE_PGM_RSRC2:TGID_Y_EN: 0
; COMPUTE_PGM_RSRC2:TGID_Z_EN: 0
; COMPUTE_PGM_RSRC2:TIDIG_COMP_CNT: 0
	.section	.text._Z6kernelI6reduceILN6hipcub20BlockReduceAlgorithmE1EEaLj64ELj3ELj100EEvPKT0_PS4_,"axG",@progbits,_Z6kernelI6reduceILN6hipcub20BlockReduceAlgorithmE1EEaLj64ELj3ELj100EEvPKT0_PS4_,comdat
	.protected	_Z6kernelI6reduceILN6hipcub20BlockReduceAlgorithmE1EEaLj64ELj3ELj100EEvPKT0_PS4_ ; -- Begin function _Z6kernelI6reduceILN6hipcub20BlockReduceAlgorithmE1EEaLj64ELj3ELj100EEvPKT0_PS4_
	.globl	_Z6kernelI6reduceILN6hipcub20BlockReduceAlgorithmE1EEaLj64ELj3ELj100EEvPKT0_PS4_
	.p2align	8
	.type	_Z6kernelI6reduceILN6hipcub20BlockReduceAlgorithmE1EEaLj64ELj3ELj100EEvPKT0_PS4_,@function
_Z6kernelI6reduceILN6hipcub20BlockReduceAlgorithmE1EEaLj64ELj3ELj100EEvPKT0_PS4_: ; @_Z6kernelI6reduceILN6hipcub20BlockReduceAlgorithmE1EEaLj64ELj3ELj100EEvPKT0_PS4_
; %bb.0:
	s_clause 0x1
	s_load_b32 s4, s[0:1], 0x1c
	s_load_b128 s[0:3], s[0:1], 0x0
	s_waitcnt lgkmcnt(0)
	s_and_b32 s4, s4, 0xffff
	s_delay_alu instid0(SALU_CYCLE_1) | instskip(NEXT) | instid1(VALU_DEP_1)
	v_mad_u64_u32 v[1:2], null, s15, s4, v[0:1]
	v_lshl_add_u32 v1, v1, 1, v1
	s_delay_alu instid0(VALU_DEP_1)
	v_add_nc_u32_e32 v2, 1, v1
	s_clause 0x1
	global_load_u8 v2, v2, s[0:1]
	global_load_u8 v3, v1, s[0:1]
	v_add_nc_u32_e32 v1, 2, v1
	global_load_u8 v4, v1, s[0:1]
	s_movk_i32 s0, 0x64
	s_waitcnt vmcnt(2)
	v_lshlrev_b16 v1, 8, v2
	s_waitcnt vmcnt(1)
	s_delay_alu instid0(VALU_DEP_1) | instskip(SKIP_1) | instid1(VALU_DEP_2)
	v_or_b32_e32 v1, v3, v1
	v_add_nc_u32_e32 v3, v0, v0
	v_and_b32_e32 v2, 0xffff, v1
	v_mov_b32_e32 v1, 0x7c
	s_waitcnt vmcnt(0)
	s_delay_alu instid0(VALU_DEP_2)
	v_lshl_or_b32 v2, v4, 16, v2
.LBB93_1:                               ; =>This Inner Loop Header: Depth=1
	s_delay_alu instid0(VALU_DEP_1) | instskip(SKIP_2) | instid1(SALU_CYCLE_1)
	v_lshrrev_b32_e32 v5, 8, v2
	v_lshrrev_b32_e32 v4, 16, v2
	s_add_i32 s0, s0, -1
	s_cmp_eq_u32 s0, 0
	s_delay_alu instid0(VALU_DEP_2) | instskip(SKIP_1) | instid1(VALU_DEP_2)
	v_add_nc_u16 v6, v5, v2
	v_lshlrev_b16 v5, 8, v5
	v_add_nc_u16 v4, v6, v4
	ds_store_b8 v0, v4
	s_waitcnt lgkmcnt(0)
	s_barrier
	buffer_gl0_inv
	ds_load_u16 v4, v3
	s_waitcnt lgkmcnt(0)
	v_lshrrev_b16 v6, 8, v4
	s_delay_alu instid0(VALU_DEP_1) | instskip(NEXT) | instid1(VALU_DEP_1)
	v_add_nc_u16 v4, v6, v4
	v_and_b32_e32 v6, 0xff, v4
	s_delay_alu instid0(VALU_DEP_1) | instskip(NEXT) | instid1(VALU_DEP_1)
	v_mov_b32_dpp v6, v6 quad_perm:[1,0,3,2] row_mask:0xf bank_mask:0xf
	v_add_nc_u16 v4, v4, v6
	s_delay_alu instid0(VALU_DEP_1) | instskip(NEXT) | instid1(VALU_DEP_1)
	v_and_b32_e32 v6, 0xff, v4
	v_mov_b32_dpp v6, v6 quad_perm:[2,3,0,1] row_mask:0xf bank_mask:0xf
	s_delay_alu instid0(VALU_DEP_1) | instskip(NEXT) | instid1(VALU_DEP_1)
	v_add_nc_u16 v4, v4, v6
	v_and_b32_e32 v6, 0xff, v4
	s_delay_alu instid0(VALU_DEP_1) | instskip(NEXT) | instid1(VALU_DEP_1)
	v_mov_b32_dpp v6, v6 row_ror:4 row_mask:0xf bank_mask:0xf
	v_add_nc_u16 v4, v4, v6
	s_delay_alu instid0(VALU_DEP_1) | instskip(NEXT) | instid1(VALU_DEP_1)
	v_and_b32_e32 v6, 0xff, v4
	v_mov_b32_dpp v6, v6 row_ror:8 row_mask:0xf bank_mask:0xf
	s_delay_alu instid0(VALU_DEP_1) | instskip(NEXT) | instid1(VALU_DEP_1)
	v_add_nc_u16 v4, v4, v6
	v_and_b32_e32 v6, 0xff, v4
	ds_swizzle_b32 v6, v6 offset:swizzle(BROADCAST,32,15)
	s_waitcnt lgkmcnt(0)
	v_add_nc_u16 v4, v4, v6
	s_delay_alu instid0(VALU_DEP_1) | instskip(SKIP_3) | instid1(VALU_DEP_1)
	v_and_b32_e32 v4, 0xff, v4
	ds_bpermute_b32 v4, v1, v4
	s_waitcnt lgkmcnt(0)
	v_and_b32_e32 v6, 0xff, v4
	v_or_b32_e32 v5, v6, v5
	s_delay_alu instid0(VALU_DEP_1) | instskip(NEXT) | instid1(VALU_DEP_1)
	v_and_b32_e32 v5, 0xffff, v5
	v_and_or_b32 v2, 0xff0000, v2, v5
	s_cbranch_scc0 .LBB93_1
; %bb.2:
	s_mov_b32 s0, exec_lo
	v_cmpx_eq_u32_e32 0, v0
	s_cbranch_execz .LBB93_4
; %bb.3:
	v_mov_b32_e32 v0, s15
	global_store_b8 v0, v4, s[2:3]
.LBB93_4:
	s_nop 0
	s_sendmsg sendmsg(MSG_DEALLOC_VGPRS)
	s_endpgm
	.section	.rodata,"a",@progbits
	.p2align	6, 0x0
	.amdhsa_kernel _Z6kernelI6reduceILN6hipcub20BlockReduceAlgorithmE1EEaLj64ELj3ELj100EEvPKT0_PS4_
		.amdhsa_group_segment_fixed_size 64
		.amdhsa_private_segment_fixed_size 0
		.amdhsa_kernarg_size 272
		.amdhsa_user_sgpr_count 15
		.amdhsa_user_sgpr_dispatch_ptr 0
		.amdhsa_user_sgpr_queue_ptr 0
		.amdhsa_user_sgpr_kernarg_segment_ptr 1
		.amdhsa_user_sgpr_dispatch_id 0
		.amdhsa_user_sgpr_private_segment_size 0
		.amdhsa_wavefront_size32 1
		.amdhsa_uses_dynamic_stack 0
		.amdhsa_enable_private_segment 0
		.amdhsa_system_sgpr_workgroup_id_x 1
		.amdhsa_system_sgpr_workgroup_id_y 0
		.amdhsa_system_sgpr_workgroup_id_z 0
		.amdhsa_system_sgpr_workgroup_info 0
		.amdhsa_system_vgpr_workitem_id 0
		.amdhsa_next_free_vgpr 7
		.amdhsa_next_free_sgpr 16
		.amdhsa_reserve_vcc 0
		.amdhsa_float_round_mode_32 0
		.amdhsa_float_round_mode_16_64 0
		.amdhsa_float_denorm_mode_32 3
		.amdhsa_float_denorm_mode_16_64 3
		.amdhsa_dx10_clamp 1
		.amdhsa_ieee_mode 1
		.amdhsa_fp16_overflow 0
		.amdhsa_workgroup_processor_mode 1
		.amdhsa_memory_ordered 1
		.amdhsa_forward_progress 0
		.amdhsa_shared_vgpr_count 0
		.amdhsa_exception_fp_ieee_invalid_op 0
		.amdhsa_exception_fp_denorm_src 0
		.amdhsa_exception_fp_ieee_div_zero 0
		.amdhsa_exception_fp_ieee_overflow 0
		.amdhsa_exception_fp_ieee_underflow 0
		.amdhsa_exception_fp_ieee_inexact 0
		.amdhsa_exception_int_div_zero 0
	.end_amdhsa_kernel
	.section	.text._Z6kernelI6reduceILN6hipcub20BlockReduceAlgorithmE1EEaLj64ELj3ELj100EEvPKT0_PS4_,"axG",@progbits,_Z6kernelI6reduceILN6hipcub20BlockReduceAlgorithmE1EEaLj64ELj3ELj100EEvPKT0_PS4_,comdat
.Lfunc_end93:
	.size	_Z6kernelI6reduceILN6hipcub20BlockReduceAlgorithmE1EEaLj64ELj3ELj100EEvPKT0_PS4_, .Lfunc_end93-_Z6kernelI6reduceILN6hipcub20BlockReduceAlgorithmE1EEaLj64ELj3ELj100EEvPKT0_PS4_
                                        ; -- End function
	.section	.AMDGPU.csdata,"",@progbits
; Kernel info:
; codeLenInByte = 508
; NumSgprs: 16
; NumVgprs: 7
; ScratchSize: 0
; MemoryBound: 0
; FloatMode: 240
; IeeeMode: 1
; LDSByteSize: 64 bytes/workgroup (compile time only)
; SGPRBlocks: 1
; VGPRBlocks: 0
; NumSGPRsForWavesPerEU: 16
; NumVGPRsForWavesPerEU: 7
; Occupancy: 16
; WaveLimiterHint : 0
; COMPUTE_PGM_RSRC2:SCRATCH_EN: 0
; COMPUTE_PGM_RSRC2:USER_SGPR: 15
; COMPUTE_PGM_RSRC2:TRAP_HANDLER: 0
; COMPUTE_PGM_RSRC2:TGID_X_EN: 1
; COMPUTE_PGM_RSRC2:TGID_Y_EN: 0
; COMPUTE_PGM_RSRC2:TGID_Z_EN: 0
; COMPUTE_PGM_RSRC2:TIDIG_COMP_CNT: 0
	.section	.text._Z6kernelI6reduceILN6hipcub20BlockReduceAlgorithmE1EEaLj64ELj4ELj100EEvPKT0_PS4_,"axG",@progbits,_Z6kernelI6reduceILN6hipcub20BlockReduceAlgorithmE1EEaLj64ELj4ELj100EEvPKT0_PS4_,comdat
	.protected	_Z6kernelI6reduceILN6hipcub20BlockReduceAlgorithmE1EEaLj64ELj4ELj100EEvPKT0_PS4_ ; -- Begin function _Z6kernelI6reduceILN6hipcub20BlockReduceAlgorithmE1EEaLj64ELj4ELj100EEvPKT0_PS4_
	.globl	_Z6kernelI6reduceILN6hipcub20BlockReduceAlgorithmE1EEaLj64ELj4ELj100EEvPKT0_PS4_
	.p2align	8
	.type	_Z6kernelI6reduceILN6hipcub20BlockReduceAlgorithmE1EEaLj64ELj4ELj100EEvPKT0_PS4_,@function
_Z6kernelI6reduceILN6hipcub20BlockReduceAlgorithmE1EEaLj64ELj4ELj100EEvPKT0_PS4_: ; @_Z6kernelI6reduceILN6hipcub20BlockReduceAlgorithmE1EEaLj64ELj4ELj100EEvPKT0_PS4_
; %bb.0:
	s_clause 0x1
	s_load_b32 s4, s[0:1], 0x1c
	s_load_b128 s[0:3], s[0:1], 0x0
	v_dual_mov_b32 v2, 0x7c :: v_dual_add_nc_u32 v3, v0, v0
	s_waitcnt lgkmcnt(0)
	s_and_b32 s4, s4, 0xffff
	s_delay_alu instid0(SALU_CYCLE_1) | instskip(NEXT) | instid1(SALU_CYCLE_1)
	s_mul_i32 s4, s15, s4
	v_add_lshl_u32 v1, s4, v0, 2
	global_load_b32 v1, v1, s[0:1]
	s_movk_i32 s0, 0x64
.LBB94_1:                               ; =>This Inner Loop Header: Depth=1
	s_waitcnt vmcnt(0)
	s_delay_alu instid0(VALU_DEP_1) | instskip(SKIP_3) | instid1(SALU_CYCLE_1)
	v_lshrrev_b32_e32 v4, 8, v1
	v_lshrrev_b32_e32 v5, 16, v1
	;; [unrolled: 1-line block ×3, first 2 shown]
	s_add_i32 s0, s0, -1
	s_cmp_eq_u32 s0, 0
	v_add_nc_u16 v4, v4, v1
	s_delay_alu instid0(VALU_DEP_1) | instskip(NEXT) | instid1(VALU_DEP_1)
	v_add_nc_u16 v4, v4, v5
	v_add_nc_u16 v4, v4, v6
	ds_store_b8 v0, v4
	s_waitcnt lgkmcnt(0)
	s_barrier
	buffer_gl0_inv
	ds_load_u16 v4, v3
	s_waitcnt lgkmcnt(0)
	v_lshrrev_b16 v5, 8, v4
	s_delay_alu instid0(VALU_DEP_1) | instskip(NEXT) | instid1(VALU_DEP_1)
	v_add_nc_u16 v4, v5, v4
	v_and_b32_e32 v5, 0xff, v4
	s_delay_alu instid0(VALU_DEP_1) | instskip(NEXT) | instid1(VALU_DEP_1)
	v_mov_b32_dpp v5, v5 quad_perm:[1,0,3,2] row_mask:0xf bank_mask:0xf
	v_add_nc_u16 v4, v4, v5
	s_delay_alu instid0(VALU_DEP_1) | instskip(NEXT) | instid1(VALU_DEP_1)
	v_and_b32_e32 v5, 0xff, v4
	v_mov_b32_dpp v5, v5 quad_perm:[2,3,0,1] row_mask:0xf bank_mask:0xf
	s_delay_alu instid0(VALU_DEP_1) | instskip(NEXT) | instid1(VALU_DEP_1)
	v_add_nc_u16 v4, v4, v5
	v_and_b32_e32 v5, 0xff, v4
	s_delay_alu instid0(VALU_DEP_1) | instskip(NEXT) | instid1(VALU_DEP_1)
	v_mov_b32_dpp v5, v5 row_ror:4 row_mask:0xf bank_mask:0xf
	v_add_nc_u16 v4, v4, v5
	s_delay_alu instid0(VALU_DEP_1) | instskip(NEXT) | instid1(VALU_DEP_1)
	v_and_b32_e32 v5, 0xff, v4
	v_mov_b32_dpp v5, v5 row_ror:8 row_mask:0xf bank_mask:0xf
	s_delay_alu instid0(VALU_DEP_1) | instskip(NEXT) | instid1(VALU_DEP_1)
	v_add_nc_u16 v4, v4, v5
	v_and_b32_e32 v5, 0xff, v4
	ds_swizzle_b32 v5, v5 offset:swizzle(BROADCAST,32,15)
	s_waitcnt lgkmcnt(0)
	v_add_nc_u16 v4, v4, v5
	s_delay_alu instid0(VALU_DEP_1)
	v_and_b32_e32 v4, 0xff, v4
	ds_bpermute_b32 v4, v2, v4
	s_waitcnt lgkmcnt(0)
	v_perm_b32 v1, v4, v1, 0x3020104
	s_cbranch_scc0 .LBB94_1
; %bb.2:
	s_mov_b32 s0, exec_lo
	v_cmpx_eq_u32_e32 0, v0
	s_cbranch_execz .LBB94_4
; %bb.3:
	v_mov_b32_e32 v0, s15
	global_store_b8 v0, v4, s[2:3]
.LBB94_4:
	s_nop 0
	s_sendmsg sendmsg(MSG_DEALLOC_VGPRS)
	s_endpgm
	.section	.rodata,"a",@progbits
	.p2align	6, 0x0
	.amdhsa_kernel _Z6kernelI6reduceILN6hipcub20BlockReduceAlgorithmE1EEaLj64ELj4ELj100EEvPKT0_PS4_
		.amdhsa_group_segment_fixed_size 64
		.amdhsa_private_segment_fixed_size 0
		.amdhsa_kernarg_size 272
		.amdhsa_user_sgpr_count 15
		.amdhsa_user_sgpr_dispatch_ptr 0
		.amdhsa_user_sgpr_queue_ptr 0
		.amdhsa_user_sgpr_kernarg_segment_ptr 1
		.amdhsa_user_sgpr_dispatch_id 0
		.amdhsa_user_sgpr_private_segment_size 0
		.amdhsa_wavefront_size32 1
		.amdhsa_uses_dynamic_stack 0
		.amdhsa_enable_private_segment 0
		.amdhsa_system_sgpr_workgroup_id_x 1
		.amdhsa_system_sgpr_workgroup_id_y 0
		.amdhsa_system_sgpr_workgroup_id_z 0
		.amdhsa_system_sgpr_workgroup_info 0
		.amdhsa_system_vgpr_workitem_id 0
		.amdhsa_next_free_vgpr 7
		.amdhsa_next_free_sgpr 16
		.amdhsa_reserve_vcc 0
		.amdhsa_float_round_mode_32 0
		.amdhsa_float_round_mode_16_64 0
		.amdhsa_float_denorm_mode_32 3
		.amdhsa_float_denorm_mode_16_64 3
		.amdhsa_dx10_clamp 1
		.amdhsa_ieee_mode 1
		.amdhsa_fp16_overflow 0
		.amdhsa_workgroup_processor_mode 1
		.amdhsa_memory_ordered 1
		.amdhsa_forward_progress 0
		.amdhsa_shared_vgpr_count 0
		.amdhsa_exception_fp_ieee_invalid_op 0
		.amdhsa_exception_fp_denorm_src 0
		.amdhsa_exception_fp_ieee_div_zero 0
		.amdhsa_exception_fp_ieee_overflow 0
		.amdhsa_exception_fp_ieee_underflow 0
		.amdhsa_exception_fp_ieee_inexact 0
		.amdhsa_exception_int_div_zero 0
	.end_amdhsa_kernel
	.section	.text._Z6kernelI6reduceILN6hipcub20BlockReduceAlgorithmE1EEaLj64ELj4ELj100EEvPKT0_PS4_,"axG",@progbits,_Z6kernelI6reduceILN6hipcub20BlockReduceAlgorithmE1EEaLj64ELj4ELj100EEvPKT0_PS4_,comdat
.Lfunc_end94:
	.size	_Z6kernelI6reduceILN6hipcub20BlockReduceAlgorithmE1EEaLj64ELj4ELj100EEvPKT0_PS4_, .Lfunc_end94-_Z6kernelI6reduceILN6hipcub20BlockReduceAlgorithmE1EEaLj64ELj4ELj100EEvPKT0_PS4_
                                        ; -- End function
	.section	.AMDGPU.csdata,"",@progbits
; Kernel info:
; codeLenInByte = 408
; NumSgprs: 16
; NumVgprs: 7
; ScratchSize: 0
; MemoryBound: 0
; FloatMode: 240
; IeeeMode: 1
; LDSByteSize: 64 bytes/workgroup (compile time only)
; SGPRBlocks: 1
; VGPRBlocks: 0
; NumSGPRsForWavesPerEU: 16
; NumVGPRsForWavesPerEU: 7
; Occupancy: 16
; WaveLimiterHint : 0
; COMPUTE_PGM_RSRC2:SCRATCH_EN: 0
; COMPUTE_PGM_RSRC2:USER_SGPR: 15
; COMPUTE_PGM_RSRC2:TRAP_HANDLER: 0
; COMPUTE_PGM_RSRC2:TGID_X_EN: 1
; COMPUTE_PGM_RSRC2:TGID_Y_EN: 0
; COMPUTE_PGM_RSRC2:TGID_Z_EN: 0
; COMPUTE_PGM_RSRC2:TIDIG_COMP_CNT: 0
	.section	.text._Z6kernelI6reduceILN6hipcub20BlockReduceAlgorithmE1EEaLj64ELj8ELj100EEvPKT0_PS4_,"axG",@progbits,_Z6kernelI6reduceILN6hipcub20BlockReduceAlgorithmE1EEaLj64ELj8ELj100EEvPKT0_PS4_,comdat
	.protected	_Z6kernelI6reduceILN6hipcub20BlockReduceAlgorithmE1EEaLj64ELj8ELj100EEvPKT0_PS4_ ; -- Begin function _Z6kernelI6reduceILN6hipcub20BlockReduceAlgorithmE1EEaLj64ELj8ELj100EEvPKT0_PS4_
	.globl	_Z6kernelI6reduceILN6hipcub20BlockReduceAlgorithmE1EEaLj64ELj8ELj100EEvPKT0_PS4_
	.p2align	8
	.type	_Z6kernelI6reduceILN6hipcub20BlockReduceAlgorithmE1EEaLj64ELj8ELj100EEvPKT0_PS4_,@function
_Z6kernelI6reduceILN6hipcub20BlockReduceAlgorithmE1EEaLj64ELj8ELj100EEvPKT0_PS4_: ; @_Z6kernelI6reduceILN6hipcub20BlockReduceAlgorithmE1EEaLj64ELj8ELj100EEvPKT0_PS4_
; %bb.0:
	s_clause 0x1
	s_load_b32 s4, s[0:1], 0x1c
	s_load_b128 s[0:3], s[0:1], 0x0
	v_dual_mov_b32 v3, 0x7c :: v_dual_add_nc_u32 v4, v0, v0
	s_waitcnt lgkmcnt(0)
	s_and_b32 s4, s4, 0xffff
	s_delay_alu instid0(SALU_CYCLE_1) | instskip(NEXT) | instid1(SALU_CYCLE_1)
	s_mul_i32 s4, s15, s4
	v_add_lshl_u32 v1, s4, v0, 3
	global_load_b64 v[1:2], v1, s[0:1]
	s_movk_i32 s0, 0x64
.LBB95_1:                               ; =>This Inner Loop Header: Depth=1
	s_waitcnt vmcnt(0)
	s_delay_alu instid0(VALU_DEP_1)
	v_lshrrev_b32_e32 v6, 8, v1
	v_lshrrev_b32_e32 v8, 16, v1
	;; [unrolled: 1-line block ×5, first 2 shown]
	v_add_nc_u16 v6, v6, v1
	v_lshrrev_b32_e32 v10, 24, v2
	s_add_i32 s0, s0, -1
	s_delay_alu instid0(SALU_CYCLE_1) | instskip(NEXT) | instid1(VALU_DEP_2)
	s_cmp_eq_u32 s0, 0
	v_add_nc_u16 v6, v6, v8
	s_delay_alu instid0(VALU_DEP_1) | instskip(NEXT) | instid1(VALU_DEP_1)
	v_add_nc_u16 v6, v6, v9
	v_add_nc_u16 v6, v6, v2
	v_perm_b32 v2, v2, v2, 0x3060504
	s_delay_alu instid0(VALU_DEP_2) | instskip(NEXT) | instid1(VALU_DEP_1)
	v_add_nc_u16 v6, v6, v7
	v_add_nc_u16 v5, v6, v5
	s_delay_alu instid0(VALU_DEP_1)
	v_add_nc_u16 v5, v5, v10
	ds_store_b8 v0, v5
	s_waitcnt lgkmcnt(0)
	s_barrier
	buffer_gl0_inv
	ds_load_u16 v5, v4
	s_waitcnt lgkmcnt(0)
	v_lshrrev_b16 v6, 8, v5
	s_delay_alu instid0(VALU_DEP_1) | instskip(NEXT) | instid1(VALU_DEP_1)
	v_add_nc_u16 v5, v6, v5
	v_and_b32_e32 v6, 0xff, v5
	s_delay_alu instid0(VALU_DEP_1) | instskip(NEXT) | instid1(VALU_DEP_1)
	v_mov_b32_dpp v6, v6 quad_perm:[1,0,3,2] row_mask:0xf bank_mask:0xf
	v_add_nc_u16 v5, v5, v6
	s_delay_alu instid0(VALU_DEP_1) | instskip(NEXT) | instid1(VALU_DEP_1)
	v_and_b32_e32 v6, 0xff, v5
	v_mov_b32_dpp v6, v6 quad_perm:[2,3,0,1] row_mask:0xf bank_mask:0xf
	s_delay_alu instid0(VALU_DEP_1) | instskip(NEXT) | instid1(VALU_DEP_1)
	v_add_nc_u16 v5, v5, v6
	v_and_b32_e32 v6, 0xff, v5
	s_delay_alu instid0(VALU_DEP_1) | instskip(NEXT) | instid1(VALU_DEP_1)
	v_mov_b32_dpp v6, v6 row_ror:4 row_mask:0xf bank_mask:0xf
	v_add_nc_u16 v5, v5, v6
	s_delay_alu instid0(VALU_DEP_1) | instskip(NEXT) | instid1(VALU_DEP_1)
	v_and_b32_e32 v6, 0xff, v5
	v_mov_b32_dpp v6, v6 row_ror:8 row_mask:0xf bank_mask:0xf
	s_delay_alu instid0(VALU_DEP_1) | instskip(NEXT) | instid1(VALU_DEP_1)
	v_add_nc_u16 v5, v5, v6
	v_and_b32_e32 v6, 0xff, v5
	ds_swizzle_b32 v6, v6 offset:swizzle(BROADCAST,32,15)
	s_waitcnt lgkmcnt(0)
	v_add_nc_u16 v5, v5, v6
	s_delay_alu instid0(VALU_DEP_1)
	v_and_b32_e32 v5, 0xff, v5
	ds_bpermute_b32 v5, v3, v5
	s_waitcnt lgkmcnt(0)
	v_perm_b32 v1, v5, v1, 0x3020104
	s_cbranch_scc0 .LBB95_1
; %bb.2:
	s_mov_b32 s0, exec_lo
	v_cmpx_eq_u32_e32 0, v0
	s_cbranch_execz .LBB95_4
; %bb.3:
	v_mov_b32_e32 v0, s15
	global_store_b8 v0, v5, s[2:3]
.LBB95_4:
	s_nop 0
	s_sendmsg sendmsg(MSG_DEALLOC_VGPRS)
	s_endpgm
	.section	.rodata,"a",@progbits
	.p2align	6, 0x0
	.amdhsa_kernel _Z6kernelI6reduceILN6hipcub20BlockReduceAlgorithmE1EEaLj64ELj8ELj100EEvPKT0_PS4_
		.amdhsa_group_segment_fixed_size 64
		.amdhsa_private_segment_fixed_size 0
		.amdhsa_kernarg_size 272
		.amdhsa_user_sgpr_count 15
		.amdhsa_user_sgpr_dispatch_ptr 0
		.amdhsa_user_sgpr_queue_ptr 0
		.amdhsa_user_sgpr_kernarg_segment_ptr 1
		.amdhsa_user_sgpr_dispatch_id 0
		.amdhsa_user_sgpr_private_segment_size 0
		.amdhsa_wavefront_size32 1
		.amdhsa_uses_dynamic_stack 0
		.amdhsa_enable_private_segment 0
		.amdhsa_system_sgpr_workgroup_id_x 1
		.amdhsa_system_sgpr_workgroup_id_y 0
		.amdhsa_system_sgpr_workgroup_id_z 0
		.amdhsa_system_sgpr_workgroup_info 0
		.amdhsa_system_vgpr_workitem_id 0
		.amdhsa_next_free_vgpr 11
		.amdhsa_next_free_sgpr 16
		.amdhsa_reserve_vcc 0
		.amdhsa_float_round_mode_32 0
		.amdhsa_float_round_mode_16_64 0
		.amdhsa_float_denorm_mode_32 3
		.amdhsa_float_denorm_mode_16_64 3
		.amdhsa_dx10_clamp 1
		.amdhsa_ieee_mode 1
		.amdhsa_fp16_overflow 0
		.amdhsa_workgroup_processor_mode 1
		.amdhsa_memory_ordered 1
		.amdhsa_forward_progress 0
		.amdhsa_shared_vgpr_count 0
		.amdhsa_exception_fp_ieee_invalid_op 0
		.amdhsa_exception_fp_denorm_src 0
		.amdhsa_exception_fp_ieee_div_zero 0
		.amdhsa_exception_fp_ieee_overflow 0
		.amdhsa_exception_fp_ieee_underflow 0
		.amdhsa_exception_fp_ieee_inexact 0
		.amdhsa_exception_int_div_zero 0
	.end_amdhsa_kernel
	.section	.text._Z6kernelI6reduceILN6hipcub20BlockReduceAlgorithmE1EEaLj64ELj8ELj100EEvPKT0_PS4_,"axG",@progbits,_Z6kernelI6reduceILN6hipcub20BlockReduceAlgorithmE1EEaLj64ELj8ELj100EEvPKT0_PS4_,comdat
.Lfunc_end95:
	.size	_Z6kernelI6reduceILN6hipcub20BlockReduceAlgorithmE1EEaLj64ELj8ELj100EEvPKT0_PS4_, .Lfunc_end95-_Z6kernelI6reduceILN6hipcub20BlockReduceAlgorithmE1EEaLj64ELj8ELj100EEvPKT0_PS4_
                                        ; -- End function
	.section	.AMDGPU.csdata,"",@progbits
; Kernel info:
; codeLenInByte = 476
; NumSgprs: 16
; NumVgprs: 11
; ScratchSize: 0
; MemoryBound: 0
; FloatMode: 240
; IeeeMode: 1
; LDSByteSize: 64 bytes/workgroup (compile time only)
; SGPRBlocks: 1
; VGPRBlocks: 1
; NumSGPRsForWavesPerEU: 16
; NumVGPRsForWavesPerEU: 11
; Occupancy: 16
; WaveLimiterHint : 0
; COMPUTE_PGM_RSRC2:SCRATCH_EN: 0
; COMPUTE_PGM_RSRC2:USER_SGPR: 15
; COMPUTE_PGM_RSRC2:TRAP_HANDLER: 0
; COMPUTE_PGM_RSRC2:TGID_X_EN: 1
; COMPUTE_PGM_RSRC2:TGID_Y_EN: 0
; COMPUTE_PGM_RSRC2:TGID_Z_EN: 0
; COMPUTE_PGM_RSRC2:TIDIG_COMP_CNT: 0
	.section	.text._Z6kernelI6reduceILN6hipcub20BlockReduceAlgorithmE1EEaLj64ELj11ELj100EEvPKT0_PS4_,"axG",@progbits,_Z6kernelI6reduceILN6hipcub20BlockReduceAlgorithmE1EEaLj64ELj11ELj100EEvPKT0_PS4_,comdat
	.protected	_Z6kernelI6reduceILN6hipcub20BlockReduceAlgorithmE1EEaLj64ELj11ELj100EEvPKT0_PS4_ ; -- Begin function _Z6kernelI6reduceILN6hipcub20BlockReduceAlgorithmE1EEaLj64ELj11ELj100EEvPKT0_PS4_
	.globl	_Z6kernelI6reduceILN6hipcub20BlockReduceAlgorithmE1EEaLj64ELj11ELj100EEvPKT0_PS4_
	.p2align	8
	.type	_Z6kernelI6reduceILN6hipcub20BlockReduceAlgorithmE1EEaLj64ELj11ELj100EEvPKT0_PS4_,@function
_Z6kernelI6reduceILN6hipcub20BlockReduceAlgorithmE1EEaLj64ELj11ELj100EEvPKT0_PS4_: ; @_Z6kernelI6reduceILN6hipcub20BlockReduceAlgorithmE1EEaLj64ELj11ELj100EEvPKT0_PS4_
; %bb.0:
	s_load_b32 s2, s[0:1], 0x1c
	s_waitcnt lgkmcnt(0)
	s_and_b32 s2, s2, 0xffff
	s_delay_alu instid0(SALU_CYCLE_1) | instskip(SKIP_1) | instid1(VALU_DEP_1)
	v_mad_u64_u32 v[1:2], null, s15, s2, v[0:1]
	s_load_b128 s[0:3], s[0:1], 0x0
	v_mul_lo_u32 v1, v1, 11
	s_delay_alu instid0(VALU_DEP_1)
	v_add_nc_u32_e32 v3, 5, v1
	v_add_nc_u32_e32 v4, 7, v1
	;; [unrolled: 1-line block ×5, first 2 shown]
	s_waitcnt lgkmcnt(0)
	s_clause 0x1
	global_load_u8 v8, v3, s[0:1]
	global_load_u8 v4, v4, s[0:1]
	v_add_nc_u32_e32 v7, 6, v1
	v_add_nc_u32_e32 v3, 2, v1
	s_clause 0x5
	global_load_u8 v9, v2, s[0:1]
	global_load_u8 v5, v5, s[0:1]
	;; [unrolled: 1-line block ×6, first 2 shown]
	v_add_nc_u32_e32 v2, 8, v1
	v_add_nc_u32_e32 v3, 9, v1
	;; [unrolled: 1-line block ×3, first 2 shown]
	s_clause 0x2
	global_load_u8 v1, v2, s[0:1]
	global_load_u8 v2, v3, s[0:1]
	;; [unrolled: 1-line block ×3, first 2 shown]
	s_movk_i32 s0, 0x64
	s_waitcnt vmcnt(8)
	v_lshlrev_b16 v9, 8, v9
	v_lshlrev_b16 v8, 8, v8
	;; [unrolled: 1-line block ×3, first 2 shown]
	s_waitcnt vmcnt(7)
	v_lshlrev_b16 v5, 8, v5
	s_waitcnt vmcnt(6)
	v_or_b32_e32 v6, v6, v8
	s_waitcnt vmcnt(5)
	v_or_b32_e32 v4, v7, v4
	;; [unrolled: 2-line block ×4, first 2 shown]
	v_add_nc_u32_e32 v10, v0, v0
	v_and_b32_e32 v6, 0xffff, v6
	v_lshlrev_b32_e32 v4, 16, v4
	v_and_b32_e32 v7, 0xffff, v7
	v_dual_mov_b32 v5, 0x7c :: v_dual_lshlrev_b32 v8, 16, v5
	s_delay_alu instid0(VALU_DEP_3) | instskip(NEXT) | instid1(VALU_DEP_2)
	v_or_b32_e32 v4, v6, v4
	v_or_b32_e32 v6, v7, v8
	s_delay_alu instid0(VALU_DEP_2)
	v_lshrrev_b32_e32 v7, 16, v4
	v_lshrrev_b32_e32 v8, 8, v4
	;; [unrolled: 1-line block ×3, first 2 shown]
.LBB96_1:                               ; =>This Inner Loop Header: Depth=1
	s_delay_alu instid0(VALU_DEP_1) | instskip(SKIP_3) | instid1(SALU_CYCLE_1)
	v_lshrrev_b32_e32 v11, 8, v6
	v_lshrrev_b32_e32 v12, 16, v6
	;; [unrolled: 1-line block ×3, first 2 shown]
	s_add_i32 s0, s0, -1
	s_cmp_eq_u32 s0, 0
	v_add_nc_u16 v11, v11, v6
	s_delay_alu instid0(VALU_DEP_1) | instskip(NEXT) | instid1(VALU_DEP_1)
	v_add_nc_u16 v11, v11, v12
	v_add_nc_u16 v11, v11, v13
	s_delay_alu instid0(VALU_DEP_1) | instskip(NEXT) | instid1(VALU_DEP_1)
	v_add_nc_u16 v11, v11, v4
	;; [unrolled: 3-line block ×3, first 2 shown]
	v_add_nc_u16 v11, v11, v9
	s_waitcnt vmcnt(2)
	s_delay_alu instid0(VALU_DEP_1) | instskip(SKIP_1) | instid1(VALU_DEP_1)
	v_add_nc_u16 v11, v11, v1
	s_waitcnt vmcnt(1)
	v_add_nc_u16 v11, v11, v2
	s_waitcnt vmcnt(0)
	s_delay_alu instid0(VALU_DEP_1)
	v_add_nc_u16 v11, v11, v3
	ds_store_b8 v0, v11
	s_waitcnt lgkmcnt(0)
	s_barrier
	buffer_gl0_inv
	ds_load_u16 v11, v10
	s_waitcnt lgkmcnt(0)
	v_lshrrev_b16 v12, 8, v11
	s_delay_alu instid0(VALU_DEP_1) | instskip(NEXT) | instid1(VALU_DEP_1)
	v_add_nc_u16 v11, v12, v11
	v_and_b32_e32 v12, 0xff, v11
	s_delay_alu instid0(VALU_DEP_1) | instskip(NEXT) | instid1(VALU_DEP_1)
	v_mov_b32_dpp v12, v12 quad_perm:[1,0,3,2] row_mask:0xf bank_mask:0xf
	v_add_nc_u16 v11, v11, v12
	s_delay_alu instid0(VALU_DEP_1) | instskip(NEXT) | instid1(VALU_DEP_1)
	v_and_b32_e32 v12, 0xff, v11
	v_mov_b32_dpp v12, v12 quad_perm:[2,3,0,1] row_mask:0xf bank_mask:0xf
	s_delay_alu instid0(VALU_DEP_1) | instskip(NEXT) | instid1(VALU_DEP_1)
	v_add_nc_u16 v11, v11, v12
	v_and_b32_e32 v12, 0xff, v11
	s_delay_alu instid0(VALU_DEP_1) | instskip(NEXT) | instid1(VALU_DEP_1)
	v_mov_b32_dpp v12, v12 row_ror:4 row_mask:0xf bank_mask:0xf
	v_add_nc_u16 v11, v11, v12
	s_delay_alu instid0(VALU_DEP_1) | instskip(NEXT) | instid1(VALU_DEP_1)
	v_and_b32_e32 v12, 0xff, v11
	v_mov_b32_dpp v12, v12 row_ror:8 row_mask:0xf bank_mask:0xf
	s_delay_alu instid0(VALU_DEP_1) | instskip(NEXT) | instid1(VALU_DEP_1)
	v_add_nc_u16 v11, v11, v12
	v_and_b32_e32 v12, 0xff, v11
	ds_swizzle_b32 v12, v12 offset:swizzle(BROADCAST,32,15)
	s_waitcnt lgkmcnt(0)
	v_add_nc_u16 v11, v11, v12
	s_delay_alu instid0(VALU_DEP_1)
	v_and_b32_e32 v11, 0xff, v11
	ds_bpermute_b32 v11, v5, v11
	s_waitcnt lgkmcnt(0)
	v_perm_b32 v6, v11, v6, 0x3020104
	s_cbranch_scc0 .LBB96_1
; %bb.2:
	s_mov_b32 s0, exec_lo
	v_cmpx_eq_u32_e32 0, v0
	s_cbranch_execz .LBB96_4
; %bb.3:
	v_mov_b32_e32 v0, s15
	global_store_b8 v0, v11, s[2:3]
.LBB96_4:
	s_nop 0
	s_sendmsg sendmsg(MSG_DEALLOC_VGPRS)
	s_endpgm
	.section	.rodata,"a",@progbits
	.p2align	6, 0x0
	.amdhsa_kernel _Z6kernelI6reduceILN6hipcub20BlockReduceAlgorithmE1EEaLj64ELj11ELj100EEvPKT0_PS4_
		.amdhsa_group_segment_fixed_size 64
		.amdhsa_private_segment_fixed_size 0
		.amdhsa_kernarg_size 272
		.amdhsa_user_sgpr_count 15
		.amdhsa_user_sgpr_dispatch_ptr 0
		.amdhsa_user_sgpr_queue_ptr 0
		.amdhsa_user_sgpr_kernarg_segment_ptr 1
		.amdhsa_user_sgpr_dispatch_id 0
		.amdhsa_user_sgpr_private_segment_size 0
		.amdhsa_wavefront_size32 1
		.amdhsa_uses_dynamic_stack 0
		.amdhsa_enable_private_segment 0
		.amdhsa_system_sgpr_workgroup_id_x 1
		.amdhsa_system_sgpr_workgroup_id_y 0
		.amdhsa_system_sgpr_workgroup_id_z 0
		.amdhsa_system_sgpr_workgroup_info 0
		.amdhsa_system_vgpr_workitem_id 0
		.amdhsa_next_free_vgpr 14
		.amdhsa_next_free_sgpr 16
		.amdhsa_reserve_vcc 0
		.amdhsa_float_round_mode_32 0
		.amdhsa_float_round_mode_16_64 0
		.amdhsa_float_denorm_mode_32 3
		.amdhsa_float_denorm_mode_16_64 3
		.amdhsa_dx10_clamp 1
		.amdhsa_ieee_mode 1
		.amdhsa_fp16_overflow 0
		.amdhsa_workgroup_processor_mode 1
		.amdhsa_memory_ordered 1
		.amdhsa_forward_progress 0
		.amdhsa_shared_vgpr_count 0
		.amdhsa_exception_fp_ieee_invalid_op 0
		.amdhsa_exception_fp_denorm_src 0
		.amdhsa_exception_fp_ieee_div_zero 0
		.amdhsa_exception_fp_ieee_overflow 0
		.amdhsa_exception_fp_ieee_underflow 0
		.amdhsa_exception_fp_ieee_inexact 0
		.amdhsa_exception_int_div_zero 0
	.end_amdhsa_kernel
	.section	.text._Z6kernelI6reduceILN6hipcub20BlockReduceAlgorithmE1EEaLj64ELj11ELj100EEvPKT0_PS4_,"axG",@progbits,_Z6kernelI6reduceILN6hipcub20BlockReduceAlgorithmE1EEaLj64ELj11ELj100EEvPKT0_PS4_,comdat
.Lfunc_end96:
	.size	_Z6kernelI6reduceILN6hipcub20BlockReduceAlgorithmE1EEaLj64ELj11ELj100EEvPKT0_PS4_, .Lfunc_end96-_Z6kernelI6reduceILN6hipcub20BlockReduceAlgorithmE1EEaLj64ELj11ELj100EEvPKT0_PS4_
                                        ; -- End function
	.section	.AMDGPU.csdata,"",@progbits
; Kernel info:
; codeLenInByte = 752
; NumSgprs: 16
; NumVgprs: 14
; ScratchSize: 0
; MemoryBound: 0
; FloatMode: 240
; IeeeMode: 1
; LDSByteSize: 64 bytes/workgroup (compile time only)
; SGPRBlocks: 1
; VGPRBlocks: 1
; NumSGPRsForWavesPerEU: 16
; NumVGPRsForWavesPerEU: 14
; Occupancy: 16
; WaveLimiterHint : 0
; COMPUTE_PGM_RSRC2:SCRATCH_EN: 0
; COMPUTE_PGM_RSRC2:USER_SGPR: 15
; COMPUTE_PGM_RSRC2:TRAP_HANDLER: 0
; COMPUTE_PGM_RSRC2:TGID_X_EN: 1
; COMPUTE_PGM_RSRC2:TGID_Y_EN: 0
; COMPUTE_PGM_RSRC2:TGID_Z_EN: 0
; COMPUTE_PGM_RSRC2:TIDIG_COMP_CNT: 0
	.section	.text._Z6kernelI6reduceILN6hipcub20BlockReduceAlgorithmE1EEaLj64ELj16ELj100EEvPKT0_PS4_,"axG",@progbits,_Z6kernelI6reduceILN6hipcub20BlockReduceAlgorithmE1EEaLj64ELj16ELj100EEvPKT0_PS4_,comdat
	.protected	_Z6kernelI6reduceILN6hipcub20BlockReduceAlgorithmE1EEaLj64ELj16ELj100EEvPKT0_PS4_ ; -- Begin function _Z6kernelI6reduceILN6hipcub20BlockReduceAlgorithmE1EEaLj64ELj16ELj100EEvPKT0_PS4_
	.globl	_Z6kernelI6reduceILN6hipcub20BlockReduceAlgorithmE1EEaLj64ELj16ELj100EEvPKT0_PS4_
	.p2align	8
	.type	_Z6kernelI6reduceILN6hipcub20BlockReduceAlgorithmE1EEaLj64ELj16ELj100EEvPKT0_PS4_,@function
_Z6kernelI6reduceILN6hipcub20BlockReduceAlgorithmE1EEaLj64ELj16ELj100EEvPKT0_PS4_: ; @_Z6kernelI6reduceILN6hipcub20BlockReduceAlgorithmE1EEaLj64ELj16ELj100EEvPKT0_PS4_
; %bb.0:
	s_clause 0x1
	s_load_b32 s4, s[0:1], 0x1c
	s_load_b128 s[0:3], s[0:1], 0x0
	v_mov_b32_e32 v5, 0x7c
	v_add_nc_u32_e32 v9, v0, v0
	s_waitcnt lgkmcnt(0)
	s_and_b32 s4, s4, 0xffff
	s_delay_alu instid0(SALU_CYCLE_1) | instskip(NEXT) | instid1(SALU_CYCLE_1)
	s_mul_i32 s4, s15, s4
	v_add_lshl_u32 v1, s4, v0, 4
	global_load_b128 v[1:4], v1, s[0:1]
	s_movk_i32 s0, 0x64
	s_waitcnt vmcnt(0)
	v_lshrrev_b32_e32 v6, 8, v3
	v_lshrrev_b32_e32 v7, 16, v3
	;; [unrolled: 1-line block ×3, first 2 shown]
.LBB97_1:                               ; =>This Inner Loop Header: Depth=1
	s_delay_alu instid0(VALU_DEP_1)
	v_lshrrev_b32_e32 v14, 8, v1
	v_lshrrev_b32_e32 v15, 16, v1
	;; [unrolled: 1-line block ×5, first 2 shown]
	v_add_nc_u16 v14, v14, v1
	v_lshrrev_b32_e32 v17, 24, v2
	v_lshrrev_b32_e32 v13, 8, v4
	;; [unrolled: 1-line block ×4, first 2 shown]
	v_add_nc_u16 v14, v14, v15
	s_add_i32 s0, s0, -1
	s_delay_alu instid0(SALU_CYCLE_1) | instskip(NEXT) | instid1(VALU_DEP_1)
	s_cmp_eq_u32 s0, 0
	v_add_nc_u16 v14, v14, v16
	s_delay_alu instid0(VALU_DEP_1) | instskip(SKIP_1) | instid1(VALU_DEP_2)
	v_add_nc_u16 v14, v14, v2
	v_perm_b32 v2, v2, v2, 0x3060504
	v_add_nc_u16 v11, v14, v11
	s_delay_alu instid0(VALU_DEP_1) | instskip(NEXT) | instid1(VALU_DEP_1)
	v_add_nc_u16 v10, v11, v10
	v_add_nc_u16 v10, v10, v17
	s_delay_alu instid0(VALU_DEP_1) | instskip(NEXT) | instid1(VALU_DEP_1)
	v_add_nc_u16 v10, v10, v3
	;; [unrolled: 3-line block ×3, first 2 shown]
	v_add_nc_u16 v10, v10, v8
	s_delay_alu instid0(VALU_DEP_1) | instskip(SKIP_1) | instid1(VALU_DEP_2)
	v_add_nc_u16 v10, v10, v4
	v_perm_b32 v4, v4, v4, 0x3060504
	v_add_nc_u16 v10, v10, v13
	s_delay_alu instid0(VALU_DEP_1) | instskip(NEXT) | instid1(VALU_DEP_1)
	v_add_nc_u16 v10, v10, v12
	v_add_nc_u16 v10, v10, v18
	ds_store_b8 v0, v10
	s_waitcnt lgkmcnt(0)
	s_barrier
	buffer_gl0_inv
	ds_load_u16 v10, v9
	s_waitcnt lgkmcnt(0)
	v_lshrrev_b16 v11, 8, v10
	s_delay_alu instid0(VALU_DEP_1) | instskip(NEXT) | instid1(VALU_DEP_1)
	v_add_nc_u16 v10, v11, v10
	v_and_b32_e32 v11, 0xff, v10
	s_delay_alu instid0(VALU_DEP_1) | instskip(NEXT) | instid1(VALU_DEP_1)
	v_mov_b32_dpp v11, v11 quad_perm:[1,0,3,2] row_mask:0xf bank_mask:0xf
	v_add_nc_u16 v10, v10, v11
	s_delay_alu instid0(VALU_DEP_1) | instskip(NEXT) | instid1(VALU_DEP_1)
	v_and_b32_e32 v11, 0xff, v10
	v_mov_b32_dpp v11, v11 quad_perm:[2,3,0,1] row_mask:0xf bank_mask:0xf
	s_delay_alu instid0(VALU_DEP_1) | instskip(NEXT) | instid1(VALU_DEP_1)
	v_add_nc_u16 v10, v10, v11
	v_and_b32_e32 v11, 0xff, v10
	s_delay_alu instid0(VALU_DEP_1) | instskip(NEXT) | instid1(VALU_DEP_1)
	v_mov_b32_dpp v11, v11 row_ror:4 row_mask:0xf bank_mask:0xf
	v_add_nc_u16 v10, v10, v11
	s_delay_alu instid0(VALU_DEP_1) | instskip(NEXT) | instid1(VALU_DEP_1)
	v_and_b32_e32 v11, 0xff, v10
	v_mov_b32_dpp v11, v11 row_ror:8 row_mask:0xf bank_mask:0xf
	s_delay_alu instid0(VALU_DEP_1) | instskip(NEXT) | instid1(VALU_DEP_1)
	v_add_nc_u16 v10, v10, v11
	v_and_b32_e32 v11, 0xff, v10
	ds_swizzle_b32 v11, v11 offset:swizzle(BROADCAST,32,15)
	s_waitcnt lgkmcnt(0)
	v_add_nc_u16 v10, v10, v11
	s_delay_alu instid0(VALU_DEP_1)
	v_and_b32_e32 v10, 0xff, v10
	ds_bpermute_b32 v10, v5, v10
	s_waitcnt lgkmcnt(0)
	v_perm_b32 v1, v10, v1, 0x3020104
	s_cbranch_scc0 .LBB97_1
; %bb.2:
	s_mov_b32 s0, exec_lo
	v_cmpx_eq_u32_e32 0, v0
	s_cbranch_execz .LBB97_4
; %bb.3:
	v_mov_b32_e32 v0, s15
	global_store_b8 v0, v10, s[2:3]
.LBB97_4:
	s_nop 0
	s_sendmsg sendmsg(MSG_DEALLOC_VGPRS)
	s_endpgm
	.section	.rodata,"a",@progbits
	.p2align	6, 0x0
	.amdhsa_kernel _Z6kernelI6reduceILN6hipcub20BlockReduceAlgorithmE1EEaLj64ELj16ELj100EEvPKT0_PS4_
		.amdhsa_group_segment_fixed_size 64
		.amdhsa_private_segment_fixed_size 0
		.amdhsa_kernarg_size 272
		.amdhsa_user_sgpr_count 15
		.amdhsa_user_sgpr_dispatch_ptr 0
		.amdhsa_user_sgpr_queue_ptr 0
		.amdhsa_user_sgpr_kernarg_segment_ptr 1
		.amdhsa_user_sgpr_dispatch_id 0
		.amdhsa_user_sgpr_private_segment_size 0
		.amdhsa_wavefront_size32 1
		.amdhsa_uses_dynamic_stack 0
		.amdhsa_enable_private_segment 0
		.amdhsa_system_sgpr_workgroup_id_x 1
		.amdhsa_system_sgpr_workgroup_id_y 0
		.amdhsa_system_sgpr_workgroup_id_z 0
		.amdhsa_system_sgpr_workgroup_info 0
		.amdhsa_system_vgpr_workitem_id 0
		.amdhsa_next_free_vgpr 19
		.amdhsa_next_free_sgpr 16
		.amdhsa_reserve_vcc 0
		.amdhsa_float_round_mode_32 0
		.amdhsa_float_round_mode_16_64 0
		.amdhsa_float_denorm_mode_32 3
		.amdhsa_float_denorm_mode_16_64 3
		.amdhsa_dx10_clamp 1
		.amdhsa_ieee_mode 1
		.amdhsa_fp16_overflow 0
		.amdhsa_workgroup_processor_mode 1
		.amdhsa_memory_ordered 1
		.amdhsa_forward_progress 0
		.amdhsa_shared_vgpr_count 0
		.amdhsa_exception_fp_ieee_invalid_op 0
		.amdhsa_exception_fp_denorm_src 0
		.amdhsa_exception_fp_ieee_div_zero 0
		.amdhsa_exception_fp_ieee_overflow 0
		.amdhsa_exception_fp_ieee_underflow 0
		.amdhsa_exception_fp_ieee_inexact 0
		.amdhsa_exception_int_div_zero 0
	.end_amdhsa_kernel
	.section	.text._Z6kernelI6reduceILN6hipcub20BlockReduceAlgorithmE1EEaLj64ELj16ELj100EEvPKT0_PS4_,"axG",@progbits,_Z6kernelI6reduceILN6hipcub20BlockReduceAlgorithmE1EEaLj64ELj16ELj100EEvPKT0_PS4_,comdat
.Lfunc_end97:
	.size	_Z6kernelI6reduceILN6hipcub20BlockReduceAlgorithmE1EEaLj64ELj16ELj100EEvPKT0_PS4_, .Lfunc_end97-_Z6kernelI6reduceILN6hipcub20BlockReduceAlgorithmE1EEaLj64ELj16ELj100EEvPKT0_PS4_
                                        ; -- End function
	.section	.AMDGPU.csdata,"",@progbits
; Kernel info:
; codeLenInByte = 588
; NumSgprs: 16
; NumVgprs: 19
; ScratchSize: 0
; MemoryBound: 0
; FloatMode: 240
; IeeeMode: 1
; LDSByteSize: 64 bytes/workgroup (compile time only)
; SGPRBlocks: 1
; VGPRBlocks: 2
; NumSGPRsForWavesPerEU: 16
; NumVGPRsForWavesPerEU: 19
; Occupancy: 16
; WaveLimiterHint : 0
; COMPUTE_PGM_RSRC2:SCRATCH_EN: 0
; COMPUTE_PGM_RSRC2:USER_SGPR: 15
; COMPUTE_PGM_RSRC2:TRAP_HANDLER: 0
; COMPUTE_PGM_RSRC2:TGID_X_EN: 1
; COMPUTE_PGM_RSRC2:TGID_Y_EN: 0
; COMPUTE_PGM_RSRC2:TGID_Z_EN: 0
; COMPUTE_PGM_RSRC2:TIDIG_COMP_CNT: 0
	.section	.text._Z6kernelI6reduceILN6hipcub20BlockReduceAlgorithmE1EEhLj64ELj1ELj100EEvPKT0_PS4_,"axG",@progbits,_Z6kernelI6reduceILN6hipcub20BlockReduceAlgorithmE1EEhLj64ELj1ELj100EEvPKT0_PS4_,comdat
	.protected	_Z6kernelI6reduceILN6hipcub20BlockReduceAlgorithmE1EEhLj64ELj1ELj100EEvPKT0_PS4_ ; -- Begin function _Z6kernelI6reduceILN6hipcub20BlockReduceAlgorithmE1EEhLj64ELj1ELj100EEvPKT0_PS4_
	.globl	_Z6kernelI6reduceILN6hipcub20BlockReduceAlgorithmE1EEhLj64ELj1ELj100EEvPKT0_PS4_
	.p2align	8
	.type	_Z6kernelI6reduceILN6hipcub20BlockReduceAlgorithmE1EEhLj64ELj1ELj100EEvPKT0_PS4_,@function
_Z6kernelI6reduceILN6hipcub20BlockReduceAlgorithmE1EEhLj64ELj1ELj100EEvPKT0_PS4_: ; @_Z6kernelI6reduceILN6hipcub20BlockReduceAlgorithmE1EEhLj64ELj1ELj100EEvPKT0_PS4_
; %bb.0:
	s_clause 0x1
	s_load_b32 s4, s[0:1], 0x1c
	s_load_b128 s[0:3], s[0:1], 0x0
	s_waitcnt lgkmcnt(0)
	s_and_b32 s4, s4, 0xffff
	s_delay_alu instid0(SALU_CYCLE_1)
	v_mad_u64_u32 v[1:2], null, s15, s4, v[0:1]
	v_add_nc_u32_e32 v2, v0, v0
	global_load_u8 v3, v1, s[0:1]
	v_mov_b32_e32 v1, 0x7c
	s_movk_i32 s0, 0x64
	s_set_inst_prefetch_distance 0x1
	.p2align	6
.LBB98_1:                               ; =>This Inner Loop Header: Depth=1
	s_waitcnt vmcnt(0) lgkmcnt(0)
	ds_store_b8 v0, v3
	s_waitcnt lgkmcnt(0)
	s_barrier
	buffer_gl0_inv
	ds_load_u16 v3, v2
	s_add_i32 s0, s0, -1
	s_delay_alu instid0(SALU_CYCLE_1) | instskip(SKIP_2) | instid1(VALU_DEP_1)
	s_cmp_eq_u32 s0, 0
	s_waitcnt lgkmcnt(0)
	v_lshrrev_b16 v4, 8, v3
	v_add_nc_u16 v3, v4, v3
	s_delay_alu instid0(VALU_DEP_1) | instskip(NEXT) | instid1(VALU_DEP_1)
	v_and_b32_e32 v4, 0xff, v3
	v_mov_b32_dpp v4, v4 quad_perm:[1,0,3,2] row_mask:0xf bank_mask:0xf
	s_delay_alu instid0(VALU_DEP_1) | instskip(NEXT) | instid1(VALU_DEP_1)
	v_add_nc_u16 v3, v3, v4
	v_and_b32_e32 v4, 0xff, v3
	s_delay_alu instid0(VALU_DEP_1) | instskip(NEXT) | instid1(VALU_DEP_1)
	v_mov_b32_dpp v4, v4 quad_perm:[2,3,0,1] row_mask:0xf bank_mask:0xf
	v_add_nc_u16 v3, v3, v4
	s_delay_alu instid0(VALU_DEP_1) | instskip(NEXT) | instid1(VALU_DEP_1)
	v_and_b32_e32 v4, 0xff, v3
	v_mov_b32_dpp v4, v4 row_ror:4 row_mask:0xf bank_mask:0xf
	s_delay_alu instid0(VALU_DEP_1) | instskip(NEXT) | instid1(VALU_DEP_1)
	v_add_nc_u16 v3, v3, v4
	v_and_b32_e32 v4, 0xff, v3
	s_delay_alu instid0(VALU_DEP_1) | instskip(NEXT) | instid1(VALU_DEP_1)
	v_mov_b32_dpp v4, v4 row_ror:8 row_mask:0xf bank_mask:0xf
	v_add_nc_u16 v3, v3, v4
	s_delay_alu instid0(VALU_DEP_1) | instskip(SKIP_3) | instid1(VALU_DEP_1)
	v_and_b32_e32 v4, 0xff, v3
	ds_swizzle_b32 v4, v4 offset:swizzle(BROADCAST,32,15)
	s_waitcnt lgkmcnt(0)
	v_add_nc_u16 v3, v3, v4
	v_and_b32_e32 v3, 0xff, v3
	ds_bpermute_b32 v3, v1, v3
	s_cbranch_scc0 .LBB98_1
; %bb.2:
	s_set_inst_prefetch_distance 0x2
	s_mov_b32 s0, exec_lo
	v_cmpx_eq_u32_e32 0, v0
	s_cbranch_execz .LBB98_4
; %bb.3:
	v_mov_b32_e32 v0, s15
	s_waitcnt lgkmcnt(0)
	global_store_b8 v0, v3, s[2:3]
.LBB98_4:
	s_nop 0
	s_sendmsg sendmsg(MSG_DEALLOC_VGPRS)
	s_endpgm
	.section	.rodata,"a",@progbits
	.p2align	6, 0x0
	.amdhsa_kernel _Z6kernelI6reduceILN6hipcub20BlockReduceAlgorithmE1EEhLj64ELj1ELj100EEvPKT0_PS4_
		.amdhsa_group_segment_fixed_size 64
		.amdhsa_private_segment_fixed_size 0
		.amdhsa_kernarg_size 272
		.amdhsa_user_sgpr_count 15
		.amdhsa_user_sgpr_dispatch_ptr 0
		.amdhsa_user_sgpr_queue_ptr 0
		.amdhsa_user_sgpr_kernarg_segment_ptr 1
		.amdhsa_user_sgpr_dispatch_id 0
		.amdhsa_user_sgpr_private_segment_size 0
		.amdhsa_wavefront_size32 1
		.amdhsa_uses_dynamic_stack 0
		.amdhsa_enable_private_segment 0
		.amdhsa_system_sgpr_workgroup_id_x 1
		.amdhsa_system_sgpr_workgroup_id_y 0
		.amdhsa_system_sgpr_workgroup_id_z 0
		.amdhsa_system_sgpr_workgroup_info 0
		.amdhsa_system_vgpr_workitem_id 0
		.amdhsa_next_free_vgpr 5
		.amdhsa_next_free_sgpr 16
		.amdhsa_reserve_vcc 0
		.amdhsa_float_round_mode_32 0
		.amdhsa_float_round_mode_16_64 0
		.amdhsa_float_denorm_mode_32 3
		.amdhsa_float_denorm_mode_16_64 3
		.amdhsa_dx10_clamp 1
		.amdhsa_ieee_mode 1
		.amdhsa_fp16_overflow 0
		.amdhsa_workgroup_processor_mode 1
		.amdhsa_memory_ordered 1
		.amdhsa_forward_progress 0
		.amdhsa_shared_vgpr_count 0
		.amdhsa_exception_fp_ieee_invalid_op 0
		.amdhsa_exception_fp_denorm_src 0
		.amdhsa_exception_fp_ieee_div_zero 0
		.amdhsa_exception_fp_ieee_overflow 0
		.amdhsa_exception_fp_ieee_underflow 0
		.amdhsa_exception_fp_ieee_inexact 0
		.amdhsa_exception_int_div_zero 0
	.end_amdhsa_kernel
	.section	.text._Z6kernelI6reduceILN6hipcub20BlockReduceAlgorithmE1EEhLj64ELj1ELj100EEvPKT0_PS4_,"axG",@progbits,_Z6kernelI6reduceILN6hipcub20BlockReduceAlgorithmE1EEhLj64ELj1ELj100EEvPKT0_PS4_,comdat
.Lfunc_end98:
	.size	_Z6kernelI6reduceILN6hipcub20BlockReduceAlgorithmE1EEhLj64ELj1ELj100EEvPKT0_PS4_, .Lfunc_end98-_Z6kernelI6reduceILN6hipcub20BlockReduceAlgorithmE1EEhLj64ELj1ELj100EEvPKT0_PS4_
                                        ; -- End function
	.section	.AMDGPU.csdata,"",@progbits
; Kernel info:
; codeLenInByte = 356
; NumSgprs: 16
; NumVgprs: 5
; ScratchSize: 0
; MemoryBound: 0
; FloatMode: 240
; IeeeMode: 1
; LDSByteSize: 64 bytes/workgroup (compile time only)
; SGPRBlocks: 1
; VGPRBlocks: 0
; NumSGPRsForWavesPerEU: 16
; NumVGPRsForWavesPerEU: 5
; Occupancy: 16
; WaveLimiterHint : 0
; COMPUTE_PGM_RSRC2:SCRATCH_EN: 0
; COMPUTE_PGM_RSRC2:USER_SGPR: 15
; COMPUTE_PGM_RSRC2:TRAP_HANDLER: 0
; COMPUTE_PGM_RSRC2:TGID_X_EN: 1
; COMPUTE_PGM_RSRC2:TGID_Y_EN: 0
; COMPUTE_PGM_RSRC2:TGID_Z_EN: 0
; COMPUTE_PGM_RSRC2:TIDIG_COMP_CNT: 0
	.section	.text._Z6kernelI6reduceILN6hipcub20BlockReduceAlgorithmE1EEhLj64ELj2ELj100EEvPKT0_PS4_,"axG",@progbits,_Z6kernelI6reduceILN6hipcub20BlockReduceAlgorithmE1EEhLj64ELj2ELj100EEvPKT0_PS4_,comdat
	.protected	_Z6kernelI6reduceILN6hipcub20BlockReduceAlgorithmE1EEhLj64ELj2ELj100EEvPKT0_PS4_ ; -- Begin function _Z6kernelI6reduceILN6hipcub20BlockReduceAlgorithmE1EEhLj64ELj2ELj100EEvPKT0_PS4_
	.globl	_Z6kernelI6reduceILN6hipcub20BlockReduceAlgorithmE1EEhLj64ELj2ELj100EEvPKT0_PS4_
	.p2align	8
	.type	_Z6kernelI6reduceILN6hipcub20BlockReduceAlgorithmE1EEhLj64ELj2ELj100EEvPKT0_PS4_,@function
_Z6kernelI6reduceILN6hipcub20BlockReduceAlgorithmE1EEhLj64ELj2ELj100EEvPKT0_PS4_: ; @_Z6kernelI6reduceILN6hipcub20BlockReduceAlgorithmE1EEhLj64ELj2ELj100EEvPKT0_PS4_
; %bb.0:
	s_clause 0x1
	s_load_b32 s4, s[0:1], 0x1c
	s_load_b128 s[0:3], s[0:1], 0x0
	v_add_nc_u32_e32 v2, v0, v0
	s_waitcnt lgkmcnt(0)
	s_and_b32 s4, s4, 0xffff
	s_delay_alu instid0(SALU_CYCLE_1) | instskip(NEXT) | instid1(SALU_CYCLE_1)
	s_mul_i32 s4, s15, s4
	v_add_lshl_u32 v1, s4, v0, 1
	global_load_u16 v3, v1, s[0:1]
	v_mov_b32_e32 v1, 0x7c
	s_movk_i32 s0, 0x64
.LBB99_1:                               ; =>This Inner Loop Header: Depth=1
	s_waitcnt vmcnt(0)
	s_delay_alu instid0(VALU_DEP_1) | instskip(SKIP_1) | instid1(SALU_CYCLE_1)
	v_lshrrev_b16 v4, 8, v3
	s_add_i32 s0, s0, -1
	s_cmp_eq_u32 s0, 0
	s_delay_alu instid0(VALU_DEP_1)
	v_add_nc_u16 v4, v4, v3
	v_and_b32_e32 v3, 0xffffff00, v3
	ds_store_b8 v0, v4
	s_waitcnt lgkmcnt(0)
	s_barrier
	buffer_gl0_inv
	ds_load_u16 v4, v2
	s_waitcnt lgkmcnt(0)
	v_lshrrev_b16 v5, 8, v4
	s_delay_alu instid0(VALU_DEP_1) | instskip(NEXT) | instid1(VALU_DEP_1)
	v_add_nc_u16 v4, v5, v4
	v_and_b32_e32 v5, 0xff, v4
	s_delay_alu instid0(VALU_DEP_1) | instskip(NEXT) | instid1(VALU_DEP_1)
	v_mov_b32_dpp v5, v5 quad_perm:[1,0,3,2] row_mask:0xf bank_mask:0xf
	v_add_nc_u16 v4, v4, v5
	s_delay_alu instid0(VALU_DEP_1) | instskip(NEXT) | instid1(VALU_DEP_1)
	v_and_b32_e32 v5, 0xff, v4
	v_mov_b32_dpp v5, v5 quad_perm:[2,3,0,1] row_mask:0xf bank_mask:0xf
	s_delay_alu instid0(VALU_DEP_1) | instskip(NEXT) | instid1(VALU_DEP_1)
	v_add_nc_u16 v4, v4, v5
	v_and_b32_e32 v5, 0xff, v4
	s_delay_alu instid0(VALU_DEP_1) | instskip(NEXT) | instid1(VALU_DEP_1)
	v_mov_b32_dpp v5, v5 row_ror:4 row_mask:0xf bank_mask:0xf
	v_add_nc_u16 v4, v4, v5
	s_delay_alu instid0(VALU_DEP_1) | instskip(NEXT) | instid1(VALU_DEP_1)
	v_and_b32_e32 v5, 0xff, v4
	v_mov_b32_dpp v5, v5 row_ror:8 row_mask:0xf bank_mask:0xf
	s_delay_alu instid0(VALU_DEP_1) | instskip(NEXT) | instid1(VALU_DEP_1)
	v_add_nc_u16 v4, v4, v5
	v_and_b32_e32 v5, 0xff, v4
	ds_swizzle_b32 v5, v5 offset:swizzle(BROADCAST,32,15)
	s_waitcnt lgkmcnt(0)
	v_add_nc_u16 v4, v4, v5
	s_delay_alu instid0(VALU_DEP_1) | instskip(SKIP_3) | instid1(VALU_DEP_1)
	v_and_b32_e32 v4, 0xff, v4
	ds_bpermute_b32 v4, v1, v4
	s_waitcnt lgkmcnt(0)
	v_and_b32_e32 v5, 0xff, v4
	v_or_b32_e32 v3, v5, v3
	s_delay_alu instid0(VALU_DEP_1)
	v_and_b32_e32 v3, 0xffff, v3
	s_cbranch_scc0 .LBB99_1
; %bb.2:
	s_mov_b32 s0, exec_lo
	v_cmpx_eq_u32_e32 0, v0
	s_cbranch_execz .LBB99_4
; %bb.3:
	v_mov_b32_e32 v0, s15
	global_store_b8 v0, v4, s[2:3]
.LBB99_4:
	s_nop 0
	s_sendmsg sendmsg(MSG_DEALLOC_VGPRS)
	s_endpgm
	.section	.rodata,"a",@progbits
	.p2align	6, 0x0
	.amdhsa_kernel _Z6kernelI6reduceILN6hipcub20BlockReduceAlgorithmE1EEhLj64ELj2ELj100EEvPKT0_PS4_
		.amdhsa_group_segment_fixed_size 64
		.amdhsa_private_segment_fixed_size 0
		.amdhsa_kernarg_size 272
		.amdhsa_user_sgpr_count 15
		.amdhsa_user_sgpr_dispatch_ptr 0
		.amdhsa_user_sgpr_queue_ptr 0
		.amdhsa_user_sgpr_kernarg_segment_ptr 1
		.amdhsa_user_sgpr_dispatch_id 0
		.amdhsa_user_sgpr_private_segment_size 0
		.amdhsa_wavefront_size32 1
		.amdhsa_uses_dynamic_stack 0
		.amdhsa_enable_private_segment 0
		.amdhsa_system_sgpr_workgroup_id_x 1
		.amdhsa_system_sgpr_workgroup_id_y 0
		.amdhsa_system_sgpr_workgroup_id_z 0
		.amdhsa_system_sgpr_workgroup_info 0
		.amdhsa_system_vgpr_workitem_id 0
		.amdhsa_next_free_vgpr 6
		.amdhsa_next_free_sgpr 16
		.amdhsa_reserve_vcc 0
		.amdhsa_float_round_mode_32 0
		.amdhsa_float_round_mode_16_64 0
		.amdhsa_float_denorm_mode_32 3
		.amdhsa_float_denorm_mode_16_64 3
		.amdhsa_dx10_clamp 1
		.amdhsa_ieee_mode 1
		.amdhsa_fp16_overflow 0
		.amdhsa_workgroup_processor_mode 1
		.amdhsa_memory_ordered 1
		.amdhsa_forward_progress 0
		.amdhsa_shared_vgpr_count 0
		.amdhsa_exception_fp_ieee_invalid_op 0
		.amdhsa_exception_fp_denorm_src 0
		.amdhsa_exception_fp_ieee_div_zero 0
		.amdhsa_exception_fp_ieee_overflow 0
		.amdhsa_exception_fp_ieee_underflow 0
		.amdhsa_exception_fp_ieee_inexact 0
		.amdhsa_exception_int_div_zero 0
	.end_amdhsa_kernel
	.section	.text._Z6kernelI6reduceILN6hipcub20BlockReduceAlgorithmE1EEhLj64ELj2ELj100EEvPKT0_PS4_,"axG",@progbits,_Z6kernelI6reduceILN6hipcub20BlockReduceAlgorithmE1EEhLj64ELj2ELj100EEvPKT0_PS4_,comdat
.Lfunc_end99:
	.size	_Z6kernelI6reduceILN6hipcub20BlockReduceAlgorithmE1EEhLj64ELj2ELj100EEvPKT0_PS4_, .Lfunc_end99-_Z6kernelI6reduceILN6hipcub20BlockReduceAlgorithmE1EEhLj64ELj2ELj100EEvPKT0_PS4_
                                        ; -- End function
	.section	.AMDGPU.csdata,"",@progbits
; Kernel info:
; codeLenInByte = 408
; NumSgprs: 16
; NumVgprs: 6
; ScratchSize: 0
; MemoryBound: 0
; FloatMode: 240
; IeeeMode: 1
; LDSByteSize: 64 bytes/workgroup (compile time only)
; SGPRBlocks: 1
; VGPRBlocks: 0
; NumSGPRsForWavesPerEU: 16
; NumVGPRsForWavesPerEU: 6
; Occupancy: 16
; WaveLimiterHint : 0
; COMPUTE_PGM_RSRC2:SCRATCH_EN: 0
; COMPUTE_PGM_RSRC2:USER_SGPR: 15
; COMPUTE_PGM_RSRC2:TRAP_HANDLER: 0
; COMPUTE_PGM_RSRC2:TGID_X_EN: 1
; COMPUTE_PGM_RSRC2:TGID_Y_EN: 0
; COMPUTE_PGM_RSRC2:TGID_Z_EN: 0
; COMPUTE_PGM_RSRC2:TIDIG_COMP_CNT: 0
	.section	.text._Z6kernelI6reduceILN6hipcub20BlockReduceAlgorithmE1EEhLj64ELj3ELj100EEvPKT0_PS4_,"axG",@progbits,_Z6kernelI6reduceILN6hipcub20BlockReduceAlgorithmE1EEhLj64ELj3ELj100EEvPKT0_PS4_,comdat
	.protected	_Z6kernelI6reduceILN6hipcub20BlockReduceAlgorithmE1EEhLj64ELj3ELj100EEvPKT0_PS4_ ; -- Begin function _Z6kernelI6reduceILN6hipcub20BlockReduceAlgorithmE1EEhLj64ELj3ELj100EEvPKT0_PS4_
	.globl	_Z6kernelI6reduceILN6hipcub20BlockReduceAlgorithmE1EEhLj64ELj3ELj100EEvPKT0_PS4_
	.p2align	8
	.type	_Z6kernelI6reduceILN6hipcub20BlockReduceAlgorithmE1EEhLj64ELj3ELj100EEvPKT0_PS4_,@function
_Z6kernelI6reduceILN6hipcub20BlockReduceAlgorithmE1EEhLj64ELj3ELj100EEvPKT0_PS4_: ; @_Z6kernelI6reduceILN6hipcub20BlockReduceAlgorithmE1EEhLj64ELj3ELj100EEvPKT0_PS4_
; %bb.0:
	s_clause 0x1
	s_load_b32 s4, s[0:1], 0x1c
	s_load_b128 s[0:3], s[0:1], 0x0
	s_waitcnt lgkmcnt(0)
	s_and_b32 s4, s4, 0xffff
	s_delay_alu instid0(SALU_CYCLE_1) | instskip(NEXT) | instid1(VALU_DEP_1)
	v_mad_u64_u32 v[1:2], null, s15, s4, v[0:1]
	v_lshl_add_u32 v1, v1, 1, v1
	s_delay_alu instid0(VALU_DEP_1)
	v_add_nc_u32_e32 v2, 1, v1
	s_clause 0x1
	global_load_u8 v2, v2, s[0:1]
	global_load_u8 v3, v1, s[0:1]
	v_add_nc_u32_e32 v1, 2, v1
	global_load_u8 v4, v1, s[0:1]
	s_movk_i32 s0, 0x64
	s_waitcnt vmcnt(2)
	v_lshlrev_b16 v1, 8, v2
	s_waitcnt vmcnt(1)
	s_delay_alu instid0(VALU_DEP_1) | instskip(SKIP_1) | instid1(VALU_DEP_2)
	v_or_b32_e32 v1, v3, v1
	v_add_nc_u32_e32 v3, v0, v0
	v_and_b32_e32 v2, 0xffff, v1
	v_mov_b32_e32 v1, 0x7c
	s_waitcnt vmcnt(0)
	s_delay_alu instid0(VALU_DEP_2)
	v_lshl_or_b32 v2, v4, 16, v2
.LBB100_1:                              ; =>This Inner Loop Header: Depth=1
	s_delay_alu instid0(VALU_DEP_1) | instskip(SKIP_2) | instid1(SALU_CYCLE_1)
	v_lshrrev_b32_e32 v5, 8, v2
	v_lshrrev_b32_e32 v4, 16, v2
	s_add_i32 s0, s0, -1
	s_cmp_eq_u32 s0, 0
	s_delay_alu instid0(VALU_DEP_2) | instskip(SKIP_1) | instid1(VALU_DEP_2)
	v_add_nc_u16 v6, v5, v2
	v_lshlrev_b16 v5, 8, v5
	v_add_nc_u16 v4, v6, v4
	ds_store_b8 v0, v4
	s_waitcnt lgkmcnt(0)
	s_barrier
	buffer_gl0_inv
	ds_load_u16 v4, v3
	s_waitcnt lgkmcnt(0)
	v_lshrrev_b16 v6, 8, v4
	s_delay_alu instid0(VALU_DEP_1) | instskip(NEXT) | instid1(VALU_DEP_1)
	v_add_nc_u16 v4, v6, v4
	v_and_b32_e32 v6, 0xff, v4
	s_delay_alu instid0(VALU_DEP_1) | instskip(NEXT) | instid1(VALU_DEP_1)
	v_mov_b32_dpp v6, v6 quad_perm:[1,0,3,2] row_mask:0xf bank_mask:0xf
	v_add_nc_u16 v4, v4, v6
	s_delay_alu instid0(VALU_DEP_1) | instskip(NEXT) | instid1(VALU_DEP_1)
	v_and_b32_e32 v6, 0xff, v4
	v_mov_b32_dpp v6, v6 quad_perm:[2,3,0,1] row_mask:0xf bank_mask:0xf
	s_delay_alu instid0(VALU_DEP_1) | instskip(NEXT) | instid1(VALU_DEP_1)
	v_add_nc_u16 v4, v4, v6
	v_and_b32_e32 v6, 0xff, v4
	s_delay_alu instid0(VALU_DEP_1) | instskip(NEXT) | instid1(VALU_DEP_1)
	v_mov_b32_dpp v6, v6 row_ror:4 row_mask:0xf bank_mask:0xf
	v_add_nc_u16 v4, v4, v6
	s_delay_alu instid0(VALU_DEP_1) | instskip(NEXT) | instid1(VALU_DEP_1)
	v_and_b32_e32 v6, 0xff, v4
	v_mov_b32_dpp v6, v6 row_ror:8 row_mask:0xf bank_mask:0xf
	s_delay_alu instid0(VALU_DEP_1) | instskip(NEXT) | instid1(VALU_DEP_1)
	v_add_nc_u16 v4, v4, v6
	v_and_b32_e32 v6, 0xff, v4
	ds_swizzle_b32 v6, v6 offset:swizzle(BROADCAST,32,15)
	s_waitcnt lgkmcnt(0)
	v_add_nc_u16 v4, v4, v6
	s_delay_alu instid0(VALU_DEP_1) | instskip(SKIP_3) | instid1(VALU_DEP_1)
	v_and_b32_e32 v4, 0xff, v4
	ds_bpermute_b32 v4, v1, v4
	s_waitcnt lgkmcnt(0)
	v_and_b32_e32 v6, 0xff, v4
	v_or_b32_e32 v5, v6, v5
	s_delay_alu instid0(VALU_DEP_1) | instskip(NEXT) | instid1(VALU_DEP_1)
	v_and_b32_e32 v5, 0xffff, v5
	v_and_or_b32 v2, 0xff0000, v2, v5
	s_cbranch_scc0 .LBB100_1
; %bb.2:
	s_mov_b32 s0, exec_lo
	v_cmpx_eq_u32_e32 0, v0
	s_cbranch_execz .LBB100_4
; %bb.3:
	v_mov_b32_e32 v0, s15
	global_store_b8 v0, v4, s[2:3]
.LBB100_4:
	s_nop 0
	s_sendmsg sendmsg(MSG_DEALLOC_VGPRS)
	s_endpgm
	.section	.rodata,"a",@progbits
	.p2align	6, 0x0
	.amdhsa_kernel _Z6kernelI6reduceILN6hipcub20BlockReduceAlgorithmE1EEhLj64ELj3ELj100EEvPKT0_PS4_
		.amdhsa_group_segment_fixed_size 64
		.amdhsa_private_segment_fixed_size 0
		.amdhsa_kernarg_size 272
		.amdhsa_user_sgpr_count 15
		.amdhsa_user_sgpr_dispatch_ptr 0
		.amdhsa_user_sgpr_queue_ptr 0
		.amdhsa_user_sgpr_kernarg_segment_ptr 1
		.amdhsa_user_sgpr_dispatch_id 0
		.amdhsa_user_sgpr_private_segment_size 0
		.amdhsa_wavefront_size32 1
		.amdhsa_uses_dynamic_stack 0
		.amdhsa_enable_private_segment 0
		.amdhsa_system_sgpr_workgroup_id_x 1
		.amdhsa_system_sgpr_workgroup_id_y 0
		.amdhsa_system_sgpr_workgroup_id_z 0
		.amdhsa_system_sgpr_workgroup_info 0
		.amdhsa_system_vgpr_workitem_id 0
		.amdhsa_next_free_vgpr 7
		.amdhsa_next_free_sgpr 16
		.amdhsa_reserve_vcc 0
		.amdhsa_float_round_mode_32 0
		.amdhsa_float_round_mode_16_64 0
		.amdhsa_float_denorm_mode_32 3
		.amdhsa_float_denorm_mode_16_64 3
		.amdhsa_dx10_clamp 1
		.amdhsa_ieee_mode 1
		.amdhsa_fp16_overflow 0
		.amdhsa_workgroup_processor_mode 1
		.amdhsa_memory_ordered 1
		.amdhsa_forward_progress 0
		.amdhsa_shared_vgpr_count 0
		.amdhsa_exception_fp_ieee_invalid_op 0
		.amdhsa_exception_fp_denorm_src 0
		.amdhsa_exception_fp_ieee_div_zero 0
		.amdhsa_exception_fp_ieee_overflow 0
		.amdhsa_exception_fp_ieee_underflow 0
		.amdhsa_exception_fp_ieee_inexact 0
		.amdhsa_exception_int_div_zero 0
	.end_amdhsa_kernel
	.section	.text._Z6kernelI6reduceILN6hipcub20BlockReduceAlgorithmE1EEhLj64ELj3ELj100EEvPKT0_PS4_,"axG",@progbits,_Z6kernelI6reduceILN6hipcub20BlockReduceAlgorithmE1EEhLj64ELj3ELj100EEvPKT0_PS4_,comdat
.Lfunc_end100:
	.size	_Z6kernelI6reduceILN6hipcub20BlockReduceAlgorithmE1EEhLj64ELj3ELj100EEvPKT0_PS4_, .Lfunc_end100-_Z6kernelI6reduceILN6hipcub20BlockReduceAlgorithmE1EEhLj64ELj3ELj100EEvPKT0_PS4_
                                        ; -- End function
	.section	.AMDGPU.csdata,"",@progbits
; Kernel info:
; codeLenInByte = 508
; NumSgprs: 16
; NumVgprs: 7
; ScratchSize: 0
; MemoryBound: 0
; FloatMode: 240
; IeeeMode: 1
; LDSByteSize: 64 bytes/workgroup (compile time only)
; SGPRBlocks: 1
; VGPRBlocks: 0
; NumSGPRsForWavesPerEU: 16
; NumVGPRsForWavesPerEU: 7
; Occupancy: 16
; WaveLimiterHint : 0
; COMPUTE_PGM_RSRC2:SCRATCH_EN: 0
; COMPUTE_PGM_RSRC2:USER_SGPR: 15
; COMPUTE_PGM_RSRC2:TRAP_HANDLER: 0
; COMPUTE_PGM_RSRC2:TGID_X_EN: 1
; COMPUTE_PGM_RSRC2:TGID_Y_EN: 0
; COMPUTE_PGM_RSRC2:TGID_Z_EN: 0
; COMPUTE_PGM_RSRC2:TIDIG_COMP_CNT: 0
	.section	.text._Z6kernelI6reduceILN6hipcub20BlockReduceAlgorithmE1EEhLj64ELj4ELj100EEvPKT0_PS4_,"axG",@progbits,_Z6kernelI6reduceILN6hipcub20BlockReduceAlgorithmE1EEhLj64ELj4ELj100EEvPKT0_PS4_,comdat
	.protected	_Z6kernelI6reduceILN6hipcub20BlockReduceAlgorithmE1EEhLj64ELj4ELj100EEvPKT0_PS4_ ; -- Begin function _Z6kernelI6reduceILN6hipcub20BlockReduceAlgorithmE1EEhLj64ELj4ELj100EEvPKT0_PS4_
	.globl	_Z6kernelI6reduceILN6hipcub20BlockReduceAlgorithmE1EEhLj64ELj4ELj100EEvPKT0_PS4_
	.p2align	8
	.type	_Z6kernelI6reduceILN6hipcub20BlockReduceAlgorithmE1EEhLj64ELj4ELj100EEvPKT0_PS4_,@function
_Z6kernelI6reduceILN6hipcub20BlockReduceAlgorithmE1EEhLj64ELj4ELj100EEvPKT0_PS4_: ; @_Z6kernelI6reduceILN6hipcub20BlockReduceAlgorithmE1EEhLj64ELj4ELj100EEvPKT0_PS4_
; %bb.0:
	s_clause 0x1
	s_load_b32 s4, s[0:1], 0x1c
	s_load_b128 s[0:3], s[0:1], 0x0
	v_dual_mov_b32 v2, 0x7c :: v_dual_add_nc_u32 v3, v0, v0
	s_waitcnt lgkmcnt(0)
	s_and_b32 s4, s4, 0xffff
	s_delay_alu instid0(SALU_CYCLE_1) | instskip(NEXT) | instid1(SALU_CYCLE_1)
	s_mul_i32 s4, s15, s4
	v_add_lshl_u32 v1, s4, v0, 2
	global_load_b32 v1, v1, s[0:1]
	s_movk_i32 s0, 0x64
.LBB101_1:                              ; =>This Inner Loop Header: Depth=1
	s_waitcnt vmcnt(0)
	s_delay_alu instid0(VALU_DEP_1) | instskip(SKIP_3) | instid1(SALU_CYCLE_1)
	v_lshrrev_b32_e32 v4, 8, v1
	v_lshrrev_b32_e32 v5, 16, v1
	;; [unrolled: 1-line block ×3, first 2 shown]
	s_add_i32 s0, s0, -1
	s_cmp_eq_u32 s0, 0
	v_add_nc_u16 v4, v4, v1
	s_delay_alu instid0(VALU_DEP_1) | instskip(NEXT) | instid1(VALU_DEP_1)
	v_add_nc_u16 v4, v4, v5
	v_add_nc_u16 v4, v4, v6
	ds_store_b8 v0, v4
	s_waitcnt lgkmcnt(0)
	s_barrier
	buffer_gl0_inv
	ds_load_u16 v4, v3
	s_waitcnt lgkmcnt(0)
	v_lshrrev_b16 v5, 8, v4
	s_delay_alu instid0(VALU_DEP_1) | instskip(NEXT) | instid1(VALU_DEP_1)
	v_add_nc_u16 v4, v5, v4
	v_and_b32_e32 v5, 0xff, v4
	s_delay_alu instid0(VALU_DEP_1) | instskip(NEXT) | instid1(VALU_DEP_1)
	v_mov_b32_dpp v5, v5 quad_perm:[1,0,3,2] row_mask:0xf bank_mask:0xf
	v_add_nc_u16 v4, v4, v5
	s_delay_alu instid0(VALU_DEP_1) | instskip(NEXT) | instid1(VALU_DEP_1)
	v_and_b32_e32 v5, 0xff, v4
	v_mov_b32_dpp v5, v5 quad_perm:[2,3,0,1] row_mask:0xf bank_mask:0xf
	s_delay_alu instid0(VALU_DEP_1) | instskip(NEXT) | instid1(VALU_DEP_1)
	v_add_nc_u16 v4, v4, v5
	v_and_b32_e32 v5, 0xff, v4
	s_delay_alu instid0(VALU_DEP_1) | instskip(NEXT) | instid1(VALU_DEP_1)
	v_mov_b32_dpp v5, v5 row_ror:4 row_mask:0xf bank_mask:0xf
	v_add_nc_u16 v4, v4, v5
	s_delay_alu instid0(VALU_DEP_1) | instskip(NEXT) | instid1(VALU_DEP_1)
	v_and_b32_e32 v5, 0xff, v4
	v_mov_b32_dpp v5, v5 row_ror:8 row_mask:0xf bank_mask:0xf
	s_delay_alu instid0(VALU_DEP_1) | instskip(NEXT) | instid1(VALU_DEP_1)
	v_add_nc_u16 v4, v4, v5
	v_and_b32_e32 v5, 0xff, v4
	ds_swizzle_b32 v5, v5 offset:swizzle(BROADCAST,32,15)
	s_waitcnt lgkmcnt(0)
	v_add_nc_u16 v4, v4, v5
	s_delay_alu instid0(VALU_DEP_1)
	v_and_b32_e32 v4, 0xff, v4
	ds_bpermute_b32 v4, v2, v4
	s_waitcnt lgkmcnt(0)
	v_perm_b32 v1, v4, v1, 0x3020104
	s_cbranch_scc0 .LBB101_1
; %bb.2:
	s_mov_b32 s0, exec_lo
	v_cmpx_eq_u32_e32 0, v0
	s_cbranch_execz .LBB101_4
; %bb.3:
	v_mov_b32_e32 v0, s15
	global_store_b8 v0, v4, s[2:3]
.LBB101_4:
	s_nop 0
	s_sendmsg sendmsg(MSG_DEALLOC_VGPRS)
	s_endpgm
	.section	.rodata,"a",@progbits
	.p2align	6, 0x0
	.amdhsa_kernel _Z6kernelI6reduceILN6hipcub20BlockReduceAlgorithmE1EEhLj64ELj4ELj100EEvPKT0_PS4_
		.amdhsa_group_segment_fixed_size 64
		.amdhsa_private_segment_fixed_size 0
		.amdhsa_kernarg_size 272
		.amdhsa_user_sgpr_count 15
		.amdhsa_user_sgpr_dispatch_ptr 0
		.amdhsa_user_sgpr_queue_ptr 0
		.amdhsa_user_sgpr_kernarg_segment_ptr 1
		.amdhsa_user_sgpr_dispatch_id 0
		.amdhsa_user_sgpr_private_segment_size 0
		.amdhsa_wavefront_size32 1
		.amdhsa_uses_dynamic_stack 0
		.amdhsa_enable_private_segment 0
		.amdhsa_system_sgpr_workgroup_id_x 1
		.amdhsa_system_sgpr_workgroup_id_y 0
		.amdhsa_system_sgpr_workgroup_id_z 0
		.amdhsa_system_sgpr_workgroup_info 0
		.amdhsa_system_vgpr_workitem_id 0
		.amdhsa_next_free_vgpr 7
		.amdhsa_next_free_sgpr 16
		.amdhsa_reserve_vcc 0
		.amdhsa_float_round_mode_32 0
		.amdhsa_float_round_mode_16_64 0
		.amdhsa_float_denorm_mode_32 3
		.amdhsa_float_denorm_mode_16_64 3
		.amdhsa_dx10_clamp 1
		.amdhsa_ieee_mode 1
		.amdhsa_fp16_overflow 0
		.amdhsa_workgroup_processor_mode 1
		.amdhsa_memory_ordered 1
		.amdhsa_forward_progress 0
		.amdhsa_shared_vgpr_count 0
		.amdhsa_exception_fp_ieee_invalid_op 0
		.amdhsa_exception_fp_denorm_src 0
		.amdhsa_exception_fp_ieee_div_zero 0
		.amdhsa_exception_fp_ieee_overflow 0
		.amdhsa_exception_fp_ieee_underflow 0
		.amdhsa_exception_fp_ieee_inexact 0
		.amdhsa_exception_int_div_zero 0
	.end_amdhsa_kernel
	.section	.text._Z6kernelI6reduceILN6hipcub20BlockReduceAlgorithmE1EEhLj64ELj4ELj100EEvPKT0_PS4_,"axG",@progbits,_Z6kernelI6reduceILN6hipcub20BlockReduceAlgorithmE1EEhLj64ELj4ELj100EEvPKT0_PS4_,comdat
.Lfunc_end101:
	.size	_Z6kernelI6reduceILN6hipcub20BlockReduceAlgorithmE1EEhLj64ELj4ELj100EEvPKT0_PS4_, .Lfunc_end101-_Z6kernelI6reduceILN6hipcub20BlockReduceAlgorithmE1EEhLj64ELj4ELj100EEvPKT0_PS4_
                                        ; -- End function
	.section	.AMDGPU.csdata,"",@progbits
; Kernel info:
; codeLenInByte = 408
; NumSgprs: 16
; NumVgprs: 7
; ScratchSize: 0
; MemoryBound: 0
; FloatMode: 240
; IeeeMode: 1
; LDSByteSize: 64 bytes/workgroup (compile time only)
; SGPRBlocks: 1
; VGPRBlocks: 0
; NumSGPRsForWavesPerEU: 16
; NumVGPRsForWavesPerEU: 7
; Occupancy: 16
; WaveLimiterHint : 0
; COMPUTE_PGM_RSRC2:SCRATCH_EN: 0
; COMPUTE_PGM_RSRC2:USER_SGPR: 15
; COMPUTE_PGM_RSRC2:TRAP_HANDLER: 0
; COMPUTE_PGM_RSRC2:TGID_X_EN: 1
; COMPUTE_PGM_RSRC2:TGID_Y_EN: 0
; COMPUTE_PGM_RSRC2:TGID_Z_EN: 0
; COMPUTE_PGM_RSRC2:TIDIG_COMP_CNT: 0
	.section	.text._Z6kernelI6reduceILN6hipcub20BlockReduceAlgorithmE1EEhLj64ELj8ELj100EEvPKT0_PS4_,"axG",@progbits,_Z6kernelI6reduceILN6hipcub20BlockReduceAlgorithmE1EEhLj64ELj8ELj100EEvPKT0_PS4_,comdat
	.protected	_Z6kernelI6reduceILN6hipcub20BlockReduceAlgorithmE1EEhLj64ELj8ELj100EEvPKT0_PS4_ ; -- Begin function _Z6kernelI6reduceILN6hipcub20BlockReduceAlgorithmE1EEhLj64ELj8ELj100EEvPKT0_PS4_
	.globl	_Z6kernelI6reduceILN6hipcub20BlockReduceAlgorithmE1EEhLj64ELj8ELj100EEvPKT0_PS4_
	.p2align	8
	.type	_Z6kernelI6reduceILN6hipcub20BlockReduceAlgorithmE1EEhLj64ELj8ELj100EEvPKT0_PS4_,@function
_Z6kernelI6reduceILN6hipcub20BlockReduceAlgorithmE1EEhLj64ELj8ELj100EEvPKT0_PS4_: ; @_Z6kernelI6reduceILN6hipcub20BlockReduceAlgorithmE1EEhLj64ELj8ELj100EEvPKT0_PS4_
; %bb.0:
	s_clause 0x1
	s_load_b32 s4, s[0:1], 0x1c
	s_load_b128 s[0:3], s[0:1], 0x0
	v_dual_mov_b32 v3, 0x7c :: v_dual_add_nc_u32 v4, v0, v0
	s_waitcnt lgkmcnt(0)
	s_and_b32 s4, s4, 0xffff
	s_delay_alu instid0(SALU_CYCLE_1) | instskip(NEXT) | instid1(SALU_CYCLE_1)
	s_mul_i32 s4, s15, s4
	v_add_lshl_u32 v1, s4, v0, 3
	global_load_b64 v[1:2], v1, s[0:1]
	s_movk_i32 s0, 0x64
.LBB102_1:                              ; =>This Inner Loop Header: Depth=1
	s_waitcnt vmcnt(0)
	s_delay_alu instid0(VALU_DEP_1)
	v_lshrrev_b32_e32 v6, 8, v1
	v_lshrrev_b32_e32 v8, 16, v1
	;; [unrolled: 1-line block ×5, first 2 shown]
	v_add_nc_u16 v6, v6, v1
	v_lshrrev_b32_e32 v10, 24, v2
	s_add_i32 s0, s0, -1
	s_delay_alu instid0(SALU_CYCLE_1) | instskip(NEXT) | instid1(VALU_DEP_2)
	s_cmp_eq_u32 s0, 0
	v_add_nc_u16 v6, v6, v8
	s_delay_alu instid0(VALU_DEP_1) | instskip(NEXT) | instid1(VALU_DEP_1)
	v_add_nc_u16 v6, v6, v9
	v_add_nc_u16 v6, v6, v2
	v_perm_b32 v2, v2, v2, 0x3060504
	s_delay_alu instid0(VALU_DEP_2) | instskip(NEXT) | instid1(VALU_DEP_1)
	v_add_nc_u16 v6, v6, v7
	v_add_nc_u16 v5, v6, v5
	s_delay_alu instid0(VALU_DEP_1)
	v_add_nc_u16 v5, v5, v10
	ds_store_b8 v0, v5
	s_waitcnt lgkmcnt(0)
	s_barrier
	buffer_gl0_inv
	ds_load_u16 v5, v4
	s_waitcnt lgkmcnt(0)
	v_lshrrev_b16 v6, 8, v5
	s_delay_alu instid0(VALU_DEP_1) | instskip(NEXT) | instid1(VALU_DEP_1)
	v_add_nc_u16 v5, v6, v5
	v_and_b32_e32 v6, 0xff, v5
	s_delay_alu instid0(VALU_DEP_1) | instskip(NEXT) | instid1(VALU_DEP_1)
	v_mov_b32_dpp v6, v6 quad_perm:[1,0,3,2] row_mask:0xf bank_mask:0xf
	v_add_nc_u16 v5, v5, v6
	s_delay_alu instid0(VALU_DEP_1) | instskip(NEXT) | instid1(VALU_DEP_1)
	v_and_b32_e32 v6, 0xff, v5
	v_mov_b32_dpp v6, v6 quad_perm:[2,3,0,1] row_mask:0xf bank_mask:0xf
	s_delay_alu instid0(VALU_DEP_1) | instskip(NEXT) | instid1(VALU_DEP_1)
	v_add_nc_u16 v5, v5, v6
	v_and_b32_e32 v6, 0xff, v5
	s_delay_alu instid0(VALU_DEP_1) | instskip(NEXT) | instid1(VALU_DEP_1)
	v_mov_b32_dpp v6, v6 row_ror:4 row_mask:0xf bank_mask:0xf
	v_add_nc_u16 v5, v5, v6
	s_delay_alu instid0(VALU_DEP_1) | instskip(NEXT) | instid1(VALU_DEP_1)
	v_and_b32_e32 v6, 0xff, v5
	v_mov_b32_dpp v6, v6 row_ror:8 row_mask:0xf bank_mask:0xf
	s_delay_alu instid0(VALU_DEP_1) | instskip(NEXT) | instid1(VALU_DEP_1)
	v_add_nc_u16 v5, v5, v6
	v_and_b32_e32 v6, 0xff, v5
	ds_swizzle_b32 v6, v6 offset:swizzle(BROADCAST,32,15)
	s_waitcnt lgkmcnt(0)
	v_add_nc_u16 v5, v5, v6
	s_delay_alu instid0(VALU_DEP_1)
	v_and_b32_e32 v5, 0xff, v5
	ds_bpermute_b32 v5, v3, v5
	s_waitcnt lgkmcnt(0)
	v_perm_b32 v1, v5, v1, 0x3020104
	s_cbranch_scc0 .LBB102_1
; %bb.2:
	s_mov_b32 s0, exec_lo
	v_cmpx_eq_u32_e32 0, v0
	s_cbranch_execz .LBB102_4
; %bb.3:
	v_mov_b32_e32 v0, s15
	global_store_b8 v0, v5, s[2:3]
.LBB102_4:
	s_nop 0
	s_sendmsg sendmsg(MSG_DEALLOC_VGPRS)
	s_endpgm
	.section	.rodata,"a",@progbits
	.p2align	6, 0x0
	.amdhsa_kernel _Z6kernelI6reduceILN6hipcub20BlockReduceAlgorithmE1EEhLj64ELj8ELj100EEvPKT0_PS4_
		.amdhsa_group_segment_fixed_size 64
		.amdhsa_private_segment_fixed_size 0
		.amdhsa_kernarg_size 272
		.amdhsa_user_sgpr_count 15
		.amdhsa_user_sgpr_dispatch_ptr 0
		.amdhsa_user_sgpr_queue_ptr 0
		.amdhsa_user_sgpr_kernarg_segment_ptr 1
		.amdhsa_user_sgpr_dispatch_id 0
		.amdhsa_user_sgpr_private_segment_size 0
		.amdhsa_wavefront_size32 1
		.amdhsa_uses_dynamic_stack 0
		.amdhsa_enable_private_segment 0
		.amdhsa_system_sgpr_workgroup_id_x 1
		.amdhsa_system_sgpr_workgroup_id_y 0
		.amdhsa_system_sgpr_workgroup_id_z 0
		.amdhsa_system_sgpr_workgroup_info 0
		.amdhsa_system_vgpr_workitem_id 0
		.amdhsa_next_free_vgpr 11
		.amdhsa_next_free_sgpr 16
		.amdhsa_reserve_vcc 0
		.amdhsa_float_round_mode_32 0
		.amdhsa_float_round_mode_16_64 0
		.amdhsa_float_denorm_mode_32 3
		.amdhsa_float_denorm_mode_16_64 3
		.amdhsa_dx10_clamp 1
		.amdhsa_ieee_mode 1
		.amdhsa_fp16_overflow 0
		.amdhsa_workgroup_processor_mode 1
		.amdhsa_memory_ordered 1
		.amdhsa_forward_progress 0
		.amdhsa_shared_vgpr_count 0
		.amdhsa_exception_fp_ieee_invalid_op 0
		.amdhsa_exception_fp_denorm_src 0
		.amdhsa_exception_fp_ieee_div_zero 0
		.amdhsa_exception_fp_ieee_overflow 0
		.amdhsa_exception_fp_ieee_underflow 0
		.amdhsa_exception_fp_ieee_inexact 0
		.amdhsa_exception_int_div_zero 0
	.end_amdhsa_kernel
	.section	.text._Z6kernelI6reduceILN6hipcub20BlockReduceAlgorithmE1EEhLj64ELj8ELj100EEvPKT0_PS4_,"axG",@progbits,_Z6kernelI6reduceILN6hipcub20BlockReduceAlgorithmE1EEhLj64ELj8ELj100EEvPKT0_PS4_,comdat
.Lfunc_end102:
	.size	_Z6kernelI6reduceILN6hipcub20BlockReduceAlgorithmE1EEhLj64ELj8ELj100EEvPKT0_PS4_, .Lfunc_end102-_Z6kernelI6reduceILN6hipcub20BlockReduceAlgorithmE1EEhLj64ELj8ELj100EEvPKT0_PS4_
                                        ; -- End function
	.section	.AMDGPU.csdata,"",@progbits
; Kernel info:
; codeLenInByte = 476
; NumSgprs: 16
; NumVgprs: 11
; ScratchSize: 0
; MemoryBound: 0
; FloatMode: 240
; IeeeMode: 1
; LDSByteSize: 64 bytes/workgroup (compile time only)
; SGPRBlocks: 1
; VGPRBlocks: 1
; NumSGPRsForWavesPerEU: 16
; NumVGPRsForWavesPerEU: 11
; Occupancy: 16
; WaveLimiterHint : 0
; COMPUTE_PGM_RSRC2:SCRATCH_EN: 0
; COMPUTE_PGM_RSRC2:USER_SGPR: 15
; COMPUTE_PGM_RSRC2:TRAP_HANDLER: 0
; COMPUTE_PGM_RSRC2:TGID_X_EN: 1
; COMPUTE_PGM_RSRC2:TGID_Y_EN: 0
; COMPUTE_PGM_RSRC2:TGID_Z_EN: 0
; COMPUTE_PGM_RSRC2:TIDIG_COMP_CNT: 0
	.section	.text._Z6kernelI6reduceILN6hipcub20BlockReduceAlgorithmE1EEhLj64ELj11ELj100EEvPKT0_PS4_,"axG",@progbits,_Z6kernelI6reduceILN6hipcub20BlockReduceAlgorithmE1EEhLj64ELj11ELj100EEvPKT0_PS4_,comdat
	.protected	_Z6kernelI6reduceILN6hipcub20BlockReduceAlgorithmE1EEhLj64ELj11ELj100EEvPKT0_PS4_ ; -- Begin function _Z6kernelI6reduceILN6hipcub20BlockReduceAlgorithmE1EEhLj64ELj11ELj100EEvPKT0_PS4_
	.globl	_Z6kernelI6reduceILN6hipcub20BlockReduceAlgorithmE1EEhLj64ELj11ELj100EEvPKT0_PS4_
	.p2align	8
	.type	_Z6kernelI6reduceILN6hipcub20BlockReduceAlgorithmE1EEhLj64ELj11ELj100EEvPKT0_PS4_,@function
_Z6kernelI6reduceILN6hipcub20BlockReduceAlgorithmE1EEhLj64ELj11ELj100EEvPKT0_PS4_: ; @_Z6kernelI6reduceILN6hipcub20BlockReduceAlgorithmE1EEhLj64ELj11ELj100EEvPKT0_PS4_
; %bb.0:
	s_load_b32 s2, s[0:1], 0x1c
	s_waitcnt lgkmcnt(0)
	s_and_b32 s2, s2, 0xffff
	s_delay_alu instid0(SALU_CYCLE_1) | instskip(SKIP_1) | instid1(VALU_DEP_1)
	v_mad_u64_u32 v[1:2], null, s15, s2, v[0:1]
	s_load_b128 s[0:3], s[0:1], 0x0
	v_mul_lo_u32 v1, v1, 11
	s_delay_alu instid0(VALU_DEP_1)
	v_add_nc_u32_e32 v3, 5, v1
	v_add_nc_u32_e32 v4, 7, v1
	;; [unrolled: 1-line block ×5, first 2 shown]
	s_waitcnt lgkmcnt(0)
	s_clause 0x1
	global_load_u8 v8, v3, s[0:1]
	global_load_u8 v4, v4, s[0:1]
	v_add_nc_u32_e32 v7, 6, v1
	v_add_nc_u32_e32 v3, 2, v1
	s_clause 0x5
	global_load_u8 v9, v2, s[0:1]
	global_load_u8 v5, v5, s[0:1]
	;; [unrolled: 1-line block ×6, first 2 shown]
	v_add_nc_u32_e32 v2, 8, v1
	v_add_nc_u32_e32 v3, 9, v1
	;; [unrolled: 1-line block ×3, first 2 shown]
	s_clause 0x2
	global_load_u8 v1, v2, s[0:1]
	global_load_u8 v2, v3, s[0:1]
	;; [unrolled: 1-line block ×3, first 2 shown]
	s_movk_i32 s0, 0x64
	s_waitcnt vmcnt(8)
	v_lshlrev_b16 v9, 8, v9
	v_lshlrev_b16 v8, 8, v8
	;; [unrolled: 1-line block ×3, first 2 shown]
	s_waitcnt vmcnt(7)
	v_lshlrev_b16 v5, 8, v5
	s_waitcnt vmcnt(6)
	v_or_b32_e32 v6, v6, v8
	s_waitcnt vmcnt(5)
	v_or_b32_e32 v4, v7, v4
	;; [unrolled: 2-line block ×4, first 2 shown]
	v_add_nc_u32_e32 v10, v0, v0
	v_and_b32_e32 v6, 0xffff, v6
	v_lshlrev_b32_e32 v4, 16, v4
	v_and_b32_e32 v7, 0xffff, v7
	v_dual_mov_b32 v5, 0x7c :: v_dual_lshlrev_b32 v8, 16, v5
	s_delay_alu instid0(VALU_DEP_3) | instskip(NEXT) | instid1(VALU_DEP_2)
	v_or_b32_e32 v4, v6, v4
	v_or_b32_e32 v6, v7, v8
	s_delay_alu instid0(VALU_DEP_2)
	v_lshrrev_b32_e32 v7, 16, v4
	v_lshrrev_b32_e32 v8, 8, v4
	;; [unrolled: 1-line block ×3, first 2 shown]
.LBB103_1:                              ; =>This Inner Loop Header: Depth=1
	s_delay_alu instid0(VALU_DEP_1) | instskip(SKIP_3) | instid1(SALU_CYCLE_1)
	v_lshrrev_b32_e32 v11, 8, v6
	v_lshrrev_b32_e32 v12, 16, v6
	;; [unrolled: 1-line block ×3, first 2 shown]
	s_add_i32 s0, s0, -1
	s_cmp_eq_u32 s0, 0
	v_add_nc_u16 v11, v11, v6
	s_delay_alu instid0(VALU_DEP_1) | instskip(NEXT) | instid1(VALU_DEP_1)
	v_add_nc_u16 v11, v11, v12
	v_add_nc_u16 v11, v11, v13
	s_delay_alu instid0(VALU_DEP_1) | instskip(NEXT) | instid1(VALU_DEP_1)
	v_add_nc_u16 v11, v11, v4
	;; [unrolled: 3-line block ×3, first 2 shown]
	v_add_nc_u16 v11, v11, v9
	s_waitcnt vmcnt(2)
	s_delay_alu instid0(VALU_DEP_1) | instskip(SKIP_1) | instid1(VALU_DEP_1)
	v_add_nc_u16 v11, v11, v1
	s_waitcnt vmcnt(1)
	v_add_nc_u16 v11, v11, v2
	s_waitcnt vmcnt(0)
	s_delay_alu instid0(VALU_DEP_1)
	v_add_nc_u16 v11, v11, v3
	ds_store_b8 v0, v11
	s_waitcnt lgkmcnt(0)
	s_barrier
	buffer_gl0_inv
	ds_load_u16 v11, v10
	s_waitcnt lgkmcnt(0)
	v_lshrrev_b16 v12, 8, v11
	s_delay_alu instid0(VALU_DEP_1) | instskip(NEXT) | instid1(VALU_DEP_1)
	v_add_nc_u16 v11, v12, v11
	v_and_b32_e32 v12, 0xff, v11
	s_delay_alu instid0(VALU_DEP_1) | instskip(NEXT) | instid1(VALU_DEP_1)
	v_mov_b32_dpp v12, v12 quad_perm:[1,0,3,2] row_mask:0xf bank_mask:0xf
	v_add_nc_u16 v11, v11, v12
	s_delay_alu instid0(VALU_DEP_1) | instskip(NEXT) | instid1(VALU_DEP_1)
	v_and_b32_e32 v12, 0xff, v11
	v_mov_b32_dpp v12, v12 quad_perm:[2,3,0,1] row_mask:0xf bank_mask:0xf
	s_delay_alu instid0(VALU_DEP_1) | instskip(NEXT) | instid1(VALU_DEP_1)
	v_add_nc_u16 v11, v11, v12
	v_and_b32_e32 v12, 0xff, v11
	s_delay_alu instid0(VALU_DEP_1) | instskip(NEXT) | instid1(VALU_DEP_1)
	v_mov_b32_dpp v12, v12 row_ror:4 row_mask:0xf bank_mask:0xf
	v_add_nc_u16 v11, v11, v12
	s_delay_alu instid0(VALU_DEP_1) | instskip(NEXT) | instid1(VALU_DEP_1)
	v_and_b32_e32 v12, 0xff, v11
	v_mov_b32_dpp v12, v12 row_ror:8 row_mask:0xf bank_mask:0xf
	s_delay_alu instid0(VALU_DEP_1) | instskip(NEXT) | instid1(VALU_DEP_1)
	v_add_nc_u16 v11, v11, v12
	v_and_b32_e32 v12, 0xff, v11
	ds_swizzle_b32 v12, v12 offset:swizzle(BROADCAST,32,15)
	s_waitcnt lgkmcnt(0)
	v_add_nc_u16 v11, v11, v12
	s_delay_alu instid0(VALU_DEP_1)
	v_and_b32_e32 v11, 0xff, v11
	ds_bpermute_b32 v11, v5, v11
	s_waitcnt lgkmcnt(0)
	v_perm_b32 v6, v11, v6, 0x3020104
	s_cbranch_scc0 .LBB103_1
; %bb.2:
	s_mov_b32 s0, exec_lo
	v_cmpx_eq_u32_e32 0, v0
	s_cbranch_execz .LBB103_4
; %bb.3:
	v_mov_b32_e32 v0, s15
	global_store_b8 v0, v11, s[2:3]
.LBB103_4:
	s_nop 0
	s_sendmsg sendmsg(MSG_DEALLOC_VGPRS)
	s_endpgm
	.section	.rodata,"a",@progbits
	.p2align	6, 0x0
	.amdhsa_kernel _Z6kernelI6reduceILN6hipcub20BlockReduceAlgorithmE1EEhLj64ELj11ELj100EEvPKT0_PS4_
		.amdhsa_group_segment_fixed_size 64
		.amdhsa_private_segment_fixed_size 0
		.amdhsa_kernarg_size 272
		.amdhsa_user_sgpr_count 15
		.amdhsa_user_sgpr_dispatch_ptr 0
		.amdhsa_user_sgpr_queue_ptr 0
		.amdhsa_user_sgpr_kernarg_segment_ptr 1
		.amdhsa_user_sgpr_dispatch_id 0
		.amdhsa_user_sgpr_private_segment_size 0
		.amdhsa_wavefront_size32 1
		.amdhsa_uses_dynamic_stack 0
		.amdhsa_enable_private_segment 0
		.amdhsa_system_sgpr_workgroup_id_x 1
		.amdhsa_system_sgpr_workgroup_id_y 0
		.amdhsa_system_sgpr_workgroup_id_z 0
		.amdhsa_system_sgpr_workgroup_info 0
		.amdhsa_system_vgpr_workitem_id 0
		.amdhsa_next_free_vgpr 14
		.amdhsa_next_free_sgpr 16
		.amdhsa_reserve_vcc 0
		.amdhsa_float_round_mode_32 0
		.amdhsa_float_round_mode_16_64 0
		.amdhsa_float_denorm_mode_32 3
		.amdhsa_float_denorm_mode_16_64 3
		.amdhsa_dx10_clamp 1
		.amdhsa_ieee_mode 1
		.amdhsa_fp16_overflow 0
		.amdhsa_workgroup_processor_mode 1
		.amdhsa_memory_ordered 1
		.amdhsa_forward_progress 0
		.amdhsa_shared_vgpr_count 0
		.amdhsa_exception_fp_ieee_invalid_op 0
		.amdhsa_exception_fp_denorm_src 0
		.amdhsa_exception_fp_ieee_div_zero 0
		.amdhsa_exception_fp_ieee_overflow 0
		.amdhsa_exception_fp_ieee_underflow 0
		.amdhsa_exception_fp_ieee_inexact 0
		.amdhsa_exception_int_div_zero 0
	.end_amdhsa_kernel
	.section	.text._Z6kernelI6reduceILN6hipcub20BlockReduceAlgorithmE1EEhLj64ELj11ELj100EEvPKT0_PS4_,"axG",@progbits,_Z6kernelI6reduceILN6hipcub20BlockReduceAlgorithmE1EEhLj64ELj11ELj100EEvPKT0_PS4_,comdat
.Lfunc_end103:
	.size	_Z6kernelI6reduceILN6hipcub20BlockReduceAlgorithmE1EEhLj64ELj11ELj100EEvPKT0_PS4_, .Lfunc_end103-_Z6kernelI6reduceILN6hipcub20BlockReduceAlgorithmE1EEhLj64ELj11ELj100EEvPKT0_PS4_
                                        ; -- End function
	.section	.AMDGPU.csdata,"",@progbits
; Kernel info:
; codeLenInByte = 752
; NumSgprs: 16
; NumVgprs: 14
; ScratchSize: 0
; MemoryBound: 0
; FloatMode: 240
; IeeeMode: 1
; LDSByteSize: 64 bytes/workgroup (compile time only)
; SGPRBlocks: 1
; VGPRBlocks: 1
; NumSGPRsForWavesPerEU: 16
; NumVGPRsForWavesPerEU: 14
; Occupancy: 16
; WaveLimiterHint : 0
; COMPUTE_PGM_RSRC2:SCRATCH_EN: 0
; COMPUTE_PGM_RSRC2:USER_SGPR: 15
; COMPUTE_PGM_RSRC2:TRAP_HANDLER: 0
; COMPUTE_PGM_RSRC2:TGID_X_EN: 1
; COMPUTE_PGM_RSRC2:TGID_Y_EN: 0
; COMPUTE_PGM_RSRC2:TGID_Z_EN: 0
; COMPUTE_PGM_RSRC2:TIDIG_COMP_CNT: 0
	.section	.text._Z6kernelI6reduceILN6hipcub20BlockReduceAlgorithmE1EEhLj64ELj16ELj100EEvPKT0_PS4_,"axG",@progbits,_Z6kernelI6reduceILN6hipcub20BlockReduceAlgorithmE1EEhLj64ELj16ELj100EEvPKT0_PS4_,comdat
	.protected	_Z6kernelI6reduceILN6hipcub20BlockReduceAlgorithmE1EEhLj64ELj16ELj100EEvPKT0_PS4_ ; -- Begin function _Z6kernelI6reduceILN6hipcub20BlockReduceAlgorithmE1EEhLj64ELj16ELj100EEvPKT0_PS4_
	.globl	_Z6kernelI6reduceILN6hipcub20BlockReduceAlgorithmE1EEhLj64ELj16ELj100EEvPKT0_PS4_
	.p2align	8
	.type	_Z6kernelI6reduceILN6hipcub20BlockReduceAlgorithmE1EEhLj64ELj16ELj100EEvPKT0_PS4_,@function
_Z6kernelI6reduceILN6hipcub20BlockReduceAlgorithmE1EEhLj64ELj16ELj100EEvPKT0_PS4_: ; @_Z6kernelI6reduceILN6hipcub20BlockReduceAlgorithmE1EEhLj64ELj16ELj100EEvPKT0_PS4_
; %bb.0:
	s_clause 0x1
	s_load_b32 s4, s[0:1], 0x1c
	s_load_b128 s[0:3], s[0:1], 0x0
	v_mov_b32_e32 v5, 0x7c
	v_add_nc_u32_e32 v9, v0, v0
	s_waitcnt lgkmcnt(0)
	s_and_b32 s4, s4, 0xffff
	s_delay_alu instid0(SALU_CYCLE_1) | instskip(NEXT) | instid1(SALU_CYCLE_1)
	s_mul_i32 s4, s15, s4
	v_add_lshl_u32 v1, s4, v0, 4
	global_load_b128 v[1:4], v1, s[0:1]
	s_movk_i32 s0, 0x64
	s_waitcnt vmcnt(0)
	v_lshrrev_b32_e32 v6, 8, v3
	v_lshrrev_b32_e32 v7, 16, v3
	;; [unrolled: 1-line block ×3, first 2 shown]
.LBB104_1:                              ; =>This Inner Loop Header: Depth=1
	s_delay_alu instid0(VALU_DEP_1)
	v_lshrrev_b32_e32 v14, 8, v1
	v_lshrrev_b32_e32 v15, 16, v1
	;; [unrolled: 1-line block ×5, first 2 shown]
	v_add_nc_u16 v14, v14, v1
	v_lshrrev_b32_e32 v17, 24, v2
	v_lshrrev_b32_e32 v13, 8, v4
	;; [unrolled: 1-line block ×4, first 2 shown]
	v_add_nc_u16 v14, v14, v15
	s_add_i32 s0, s0, -1
	s_delay_alu instid0(SALU_CYCLE_1) | instskip(NEXT) | instid1(VALU_DEP_1)
	s_cmp_eq_u32 s0, 0
	v_add_nc_u16 v14, v14, v16
	s_delay_alu instid0(VALU_DEP_1) | instskip(SKIP_1) | instid1(VALU_DEP_2)
	v_add_nc_u16 v14, v14, v2
	v_perm_b32 v2, v2, v2, 0x3060504
	v_add_nc_u16 v11, v14, v11
	s_delay_alu instid0(VALU_DEP_1) | instskip(NEXT) | instid1(VALU_DEP_1)
	v_add_nc_u16 v10, v11, v10
	v_add_nc_u16 v10, v10, v17
	s_delay_alu instid0(VALU_DEP_1) | instskip(NEXT) | instid1(VALU_DEP_1)
	v_add_nc_u16 v10, v10, v3
	;; [unrolled: 3-line block ×3, first 2 shown]
	v_add_nc_u16 v10, v10, v8
	s_delay_alu instid0(VALU_DEP_1) | instskip(SKIP_1) | instid1(VALU_DEP_2)
	v_add_nc_u16 v10, v10, v4
	v_perm_b32 v4, v4, v4, 0x3060504
	v_add_nc_u16 v10, v10, v13
	s_delay_alu instid0(VALU_DEP_1) | instskip(NEXT) | instid1(VALU_DEP_1)
	v_add_nc_u16 v10, v10, v12
	v_add_nc_u16 v10, v10, v18
	ds_store_b8 v0, v10
	s_waitcnt lgkmcnt(0)
	s_barrier
	buffer_gl0_inv
	ds_load_u16 v10, v9
	s_waitcnt lgkmcnt(0)
	v_lshrrev_b16 v11, 8, v10
	s_delay_alu instid0(VALU_DEP_1) | instskip(NEXT) | instid1(VALU_DEP_1)
	v_add_nc_u16 v10, v11, v10
	v_and_b32_e32 v11, 0xff, v10
	s_delay_alu instid0(VALU_DEP_1) | instskip(NEXT) | instid1(VALU_DEP_1)
	v_mov_b32_dpp v11, v11 quad_perm:[1,0,3,2] row_mask:0xf bank_mask:0xf
	v_add_nc_u16 v10, v10, v11
	s_delay_alu instid0(VALU_DEP_1) | instskip(NEXT) | instid1(VALU_DEP_1)
	v_and_b32_e32 v11, 0xff, v10
	v_mov_b32_dpp v11, v11 quad_perm:[2,3,0,1] row_mask:0xf bank_mask:0xf
	s_delay_alu instid0(VALU_DEP_1) | instskip(NEXT) | instid1(VALU_DEP_1)
	v_add_nc_u16 v10, v10, v11
	v_and_b32_e32 v11, 0xff, v10
	s_delay_alu instid0(VALU_DEP_1) | instskip(NEXT) | instid1(VALU_DEP_1)
	v_mov_b32_dpp v11, v11 row_ror:4 row_mask:0xf bank_mask:0xf
	v_add_nc_u16 v10, v10, v11
	s_delay_alu instid0(VALU_DEP_1) | instskip(NEXT) | instid1(VALU_DEP_1)
	v_and_b32_e32 v11, 0xff, v10
	v_mov_b32_dpp v11, v11 row_ror:8 row_mask:0xf bank_mask:0xf
	s_delay_alu instid0(VALU_DEP_1) | instskip(NEXT) | instid1(VALU_DEP_1)
	v_add_nc_u16 v10, v10, v11
	v_and_b32_e32 v11, 0xff, v10
	ds_swizzle_b32 v11, v11 offset:swizzle(BROADCAST,32,15)
	s_waitcnt lgkmcnt(0)
	v_add_nc_u16 v10, v10, v11
	s_delay_alu instid0(VALU_DEP_1)
	v_and_b32_e32 v10, 0xff, v10
	ds_bpermute_b32 v10, v5, v10
	s_waitcnt lgkmcnt(0)
	v_perm_b32 v1, v10, v1, 0x3020104
	s_cbranch_scc0 .LBB104_1
; %bb.2:
	s_mov_b32 s0, exec_lo
	v_cmpx_eq_u32_e32 0, v0
	s_cbranch_execz .LBB104_4
; %bb.3:
	v_mov_b32_e32 v0, s15
	global_store_b8 v0, v10, s[2:3]
.LBB104_4:
	s_nop 0
	s_sendmsg sendmsg(MSG_DEALLOC_VGPRS)
	s_endpgm
	.section	.rodata,"a",@progbits
	.p2align	6, 0x0
	.amdhsa_kernel _Z6kernelI6reduceILN6hipcub20BlockReduceAlgorithmE1EEhLj64ELj16ELj100EEvPKT0_PS4_
		.amdhsa_group_segment_fixed_size 64
		.amdhsa_private_segment_fixed_size 0
		.amdhsa_kernarg_size 272
		.amdhsa_user_sgpr_count 15
		.amdhsa_user_sgpr_dispatch_ptr 0
		.amdhsa_user_sgpr_queue_ptr 0
		.amdhsa_user_sgpr_kernarg_segment_ptr 1
		.amdhsa_user_sgpr_dispatch_id 0
		.amdhsa_user_sgpr_private_segment_size 0
		.amdhsa_wavefront_size32 1
		.amdhsa_uses_dynamic_stack 0
		.amdhsa_enable_private_segment 0
		.amdhsa_system_sgpr_workgroup_id_x 1
		.amdhsa_system_sgpr_workgroup_id_y 0
		.amdhsa_system_sgpr_workgroup_id_z 0
		.amdhsa_system_sgpr_workgroup_info 0
		.amdhsa_system_vgpr_workitem_id 0
		.amdhsa_next_free_vgpr 19
		.amdhsa_next_free_sgpr 16
		.amdhsa_reserve_vcc 0
		.amdhsa_float_round_mode_32 0
		.amdhsa_float_round_mode_16_64 0
		.amdhsa_float_denorm_mode_32 3
		.amdhsa_float_denorm_mode_16_64 3
		.amdhsa_dx10_clamp 1
		.amdhsa_ieee_mode 1
		.amdhsa_fp16_overflow 0
		.amdhsa_workgroup_processor_mode 1
		.amdhsa_memory_ordered 1
		.amdhsa_forward_progress 0
		.amdhsa_shared_vgpr_count 0
		.amdhsa_exception_fp_ieee_invalid_op 0
		.amdhsa_exception_fp_denorm_src 0
		.amdhsa_exception_fp_ieee_div_zero 0
		.amdhsa_exception_fp_ieee_overflow 0
		.amdhsa_exception_fp_ieee_underflow 0
		.amdhsa_exception_fp_ieee_inexact 0
		.amdhsa_exception_int_div_zero 0
	.end_amdhsa_kernel
	.section	.text._Z6kernelI6reduceILN6hipcub20BlockReduceAlgorithmE1EEhLj64ELj16ELj100EEvPKT0_PS4_,"axG",@progbits,_Z6kernelI6reduceILN6hipcub20BlockReduceAlgorithmE1EEhLj64ELj16ELj100EEvPKT0_PS4_,comdat
.Lfunc_end104:
	.size	_Z6kernelI6reduceILN6hipcub20BlockReduceAlgorithmE1EEhLj64ELj16ELj100EEvPKT0_PS4_, .Lfunc_end104-_Z6kernelI6reduceILN6hipcub20BlockReduceAlgorithmE1EEhLj64ELj16ELj100EEvPKT0_PS4_
                                        ; -- End function
	.section	.AMDGPU.csdata,"",@progbits
; Kernel info:
; codeLenInByte = 588
; NumSgprs: 16
; NumVgprs: 19
; ScratchSize: 0
; MemoryBound: 0
; FloatMode: 240
; IeeeMode: 1
; LDSByteSize: 64 bytes/workgroup (compile time only)
; SGPRBlocks: 1
; VGPRBlocks: 2
; NumSGPRsForWavesPerEU: 16
; NumVGPRsForWavesPerEU: 19
; Occupancy: 16
; WaveLimiterHint : 0
; COMPUTE_PGM_RSRC2:SCRATCH_EN: 0
; COMPUTE_PGM_RSRC2:USER_SGPR: 15
; COMPUTE_PGM_RSRC2:TRAP_HANDLER: 0
; COMPUTE_PGM_RSRC2:TGID_X_EN: 1
; COMPUTE_PGM_RSRC2:TGID_Y_EN: 0
; COMPUTE_PGM_RSRC2:TGID_Z_EN: 0
; COMPUTE_PGM_RSRC2:TIDIG_COMP_CNT: 0
	.section	.text._Z6kernelI6reduceILN6hipcub20BlockReduceAlgorithmE1EEiLj256ELj1ELj100EEvPKT0_PS4_,"axG",@progbits,_Z6kernelI6reduceILN6hipcub20BlockReduceAlgorithmE1EEiLj256ELj1ELj100EEvPKT0_PS4_,comdat
	.protected	_Z6kernelI6reduceILN6hipcub20BlockReduceAlgorithmE1EEiLj256ELj1ELj100EEvPKT0_PS4_ ; -- Begin function _Z6kernelI6reduceILN6hipcub20BlockReduceAlgorithmE1EEiLj256ELj1ELj100EEvPKT0_PS4_
	.globl	_Z6kernelI6reduceILN6hipcub20BlockReduceAlgorithmE1EEiLj256ELj1ELj100EEvPKT0_PS4_
	.p2align	8
	.type	_Z6kernelI6reduceILN6hipcub20BlockReduceAlgorithmE1EEiLj256ELj1ELj100EEvPKT0_PS4_,@function
_Z6kernelI6reduceILN6hipcub20BlockReduceAlgorithmE1EEiLj256ELj1ELj100EEvPKT0_PS4_: ; @_Z6kernelI6reduceILN6hipcub20BlockReduceAlgorithmE1EEiLj256ELj1ELj100EEvPKT0_PS4_
; %bb.0:
	s_clause 0x1
	s_load_b32 s5, s[0:1], 0x1c
	s_load_b128 s[0:3], s[0:1], 0x0
	s_mov_b32 s4, s15
	v_mul_u32_u24_e32 v4, 28, v0
	s_waitcnt lgkmcnt(0)
	s_and_b32 s5, s5, 0xffff
	s_delay_alu instid0(SALU_CYCLE_1) | instskip(SKIP_1) | instid1(VALU_DEP_1)
	v_mad_u64_u32 v[1:2], null, s4, s5, v[0:1]
	v_mov_b32_e32 v2, 0
	v_lshlrev_b64 v[1:2], 2, v[1:2]
	s_delay_alu instid0(VALU_DEP_1) | instskip(NEXT) | instid1(VALU_DEP_2)
	v_add_co_u32 v1, vcc_lo, s0, v1
	v_add_co_ci_u32_e32 v2, vcc_lo, s1, v2, vcc_lo
	s_movk_i32 s0, 0x64
	global_load_b32 v2, v[1:2], off
	v_lshlrev_b32_e32 v1, 2, v0
	s_delay_alu instid0(VALU_DEP_1)
	v_dual_mov_b32 v3, 0x7c :: v_dual_add_nc_u32 v4, v1, v4
	s_set_inst_prefetch_distance 0x1
	.p2align	6
.LBB105_1:                              ; =>This Inner Loop Header: Depth=1
	s_waitcnt vmcnt(0) lgkmcnt(0)
	ds_store_b32 v1, v2
	s_waitcnt lgkmcnt(0)
	s_barrier
	buffer_gl0_inv
	ds_load_2addr_b64 v[5:8], v4 offset0:2 offset1:3
	ds_load_2addr_b64 v[9:12], v4 offset1:1
	s_add_i32 s0, s0, -1
	s_delay_alu instid0(SALU_CYCLE_1)
	s_cmp_eq_u32 s0, 0
	s_waitcnt lgkmcnt(1)
	v_add_nc_u32_e32 v2, v6, v8
	s_waitcnt lgkmcnt(0)
	v_add_nc_u32_e32 v6, v10, v12
	v_add_nc_u32_e32 v8, v9, v11
	s_delay_alu instid0(VALU_DEP_3) | instskip(NEXT) | instid1(VALU_DEP_1)
	v_add3_u32 v2, v5, v7, v2
	v_add3_u32 v2, v8, v6, v2
	s_delay_alu instid0(VALU_DEP_1) | instskip(NEXT) | instid1(VALU_DEP_1)
	v_mov_b32_dpp v5, v2 quad_perm:[1,0,3,2] row_mask:0xf bank_mask:0xf
	v_add_nc_u32_e32 v2, v5, v2
	s_delay_alu instid0(VALU_DEP_1) | instskip(NEXT) | instid1(VALU_DEP_1)
	v_mov_b32_dpp v5, v2 quad_perm:[2,3,0,1] row_mask:0xf bank_mask:0xf
	v_add_nc_u32_e32 v2, v2, v5
	s_delay_alu instid0(VALU_DEP_1) | instskip(NEXT) | instid1(VALU_DEP_1)
	v_mov_b32_dpp v5, v2 row_ror:4 row_mask:0xf bank_mask:0xf
	v_add_nc_u32_e32 v2, v2, v5
	s_delay_alu instid0(VALU_DEP_1) | instskip(NEXT) | instid1(VALU_DEP_1)
	v_mov_b32_dpp v5, v2 row_ror:8 row_mask:0xf bank_mask:0xf
	v_add_nc_u32_e32 v2, v2, v5
	ds_swizzle_b32 v5, v2 offset:swizzle(BROADCAST,32,15)
	s_waitcnt lgkmcnt(0)
	v_add_nc_u32_e32 v2, v2, v5
	ds_bpermute_b32 v2, v3, v2
	s_cbranch_scc0 .LBB105_1
; %bb.2:
	s_set_inst_prefetch_distance 0x2
	s_mov_b32 s5, 0
	s_mov_b32 s0, exec_lo
	v_cmpx_eq_u32_e32 0, v0
	s_cbranch_execz .LBB105_4
; %bb.3:
	s_lshl_b64 s[0:1], s[4:5], 2
	v_mov_b32_e32 v0, 0
	s_add_u32 s0, s2, s0
	s_addc_u32 s1, s3, s1
	s_waitcnt lgkmcnt(0)
	global_store_b32 v0, v2, s[0:1]
.LBB105_4:
	s_nop 0
	s_sendmsg sendmsg(MSG_DEALLOC_VGPRS)
	s_endpgm
	.section	.rodata,"a",@progbits
	.p2align	6, 0x0
	.amdhsa_kernel _Z6kernelI6reduceILN6hipcub20BlockReduceAlgorithmE1EEiLj256ELj1ELj100EEvPKT0_PS4_
		.amdhsa_group_segment_fixed_size 1024
		.amdhsa_private_segment_fixed_size 0
		.amdhsa_kernarg_size 272
		.amdhsa_user_sgpr_count 15
		.amdhsa_user_sgpr_dispatch_ptr 0
		.amdhsa_user_sgpr_queue_ptr 0
		.amdhsa_user_sgpr_kernarg_segment_ptr 1
		.amdhsa_user_sgpr_dispatch_id 0
		.amdhsa_user_sgpr_private_segment_size 0
		.amdhsa_wavefront_size32 1
		.amdhsa_uses_dynamic_stack 0
		.amdhsa_enable_private_segment 0
		.amdhsa_system_sgpr_workgroup_id_x 1
		.amdhsa_system_sgpr_workgroup_id_y 0
		.amdhsa_system_sgpr_workgroup_id_z 0
		.amdhsa_system_sgpr_workgroup_info 0
		.amdhsa_system_vgpr_workitem_id 0
		.amdhsa_next_free_vgpr 13
		.amdhsa_next_free_sgpr 16
		.amdhsa_reserve_vcc 1
		.amdhsa_float_round_mode_32 0
		.amdhsa_float_round_mode_16_64 0
		.amdhsa_float_denorm_mode_32 3
		.amdhsa_float_denorm_mode_16_64 3
		.amdhsa_dx10_clamp 1
		.amdhsa_ieee_mode 1
		.amdhsa_fp16_overflow 0
		.amdhsa_workgroup_processor_mode 1
		.amdhsa_memory_ordered 1
		.amdhsa_forward_progress 0
		.amdhsa_shared_vgpr_count 0
		.amdhsa_exception_fp_ieee_invalid_op 0
		.amdhsa_exception_fp_denorm_src 0
		.amdhsa_exception_fp_ieee_div_zero 0
		.amdhsa_exception_fp_ieee_overflow 0
		.amdhsa_exception_fp_ieee_underflow 0
		.amdhsa_exception_fp_ieee_inexact 0
		.amdhsa_exception_int_div_zero 0
	.end_amdhsa_kernel
	.section	.text._Z6kernelI6reduceILN6hipcub20BlockReduceAlgorithmE1EEiLj256ELj1ELj100EEvPKT0_PS4_,"axG",@progbits,_Z6kernelI6reduceILN6hipcub20BlockReduceAlgorithmE1EEiLj256ELj1ELj100EEvPKT0_PS4_,comdat
.Lfunc_end105:
	.size	_Z6kernelI6reduceILN6hipcub20BlockReduceAlgorithmE1EEiLj256ELj1ELj100EEvPKT0_PS4_, .Lfunc_end105-_Z6kernelI6reduceILN6hipcub20BlockReduceAlgorithmE1EEiLj256ELj1ELj100EEvPKT0_PS4_
                                        ; -- End function
	.section	.AMDGPU.csdata,"",@progbits
; Kernel info:
; codeLenInByte = 364
; NumSgprs: 18
; NumVgprs: 13
; ScratchSize: 0
; MemoryBound: 0
; FloatMode: 240
; IeeeMode: 1
; LDSByteSize: 1024 bytes/workgroup (compile time only)
; SGPRBlocks: 2
; VGPRBlocks: 1
; NumSGPRsForWavesPerEU: 18
; NumVGPRsForWavesPerEU: 13
; Occupancy: 16
; WaveLimiterHint : 0
; COMPUTE_PGM_RSRC2:SCRATCH_EN: 0
; COMPUTE_PGM_RSRC2:USER_SGPR: 15
; COMPUTE_PGM_RSRC2:TRAP_HANDLER: 0
; COMPUTE_PGM_RSRC2:TGID_X_EN: 1
; COMPUTE_PGM_RSRC2:TGID_Y_EN: 0
; COMPUTE_PGM_RSRC2:TGID_Z_EN: 0
; COMPUTE_PGM_RSRC2:TIDIG_COMP_CNT: 0
	.section	.text._Z6kernelI6reduceILN6hipcub20BlockReduceAlgorithmE1EEiLj256ELj2ELj100EEvPKT0_PS4_,"axG",@progbits,_Z6kernelI6reduceILN6hipcub20BlockReduceAlgorithmE1EEiLj256ELj2ELj100EEvPKT0_PS4_,comdat
	.protected	_Z6kernelI6reduceILN6hipcub20BlockReduceAlgorithmE1EEiLj256ELj2ELj100EEvPKT0_PS4_ ; -- Begin function _Z6kernelI6reduceILN6hipcub20BlockReduceAlgorithmE1EEiLj256ELj2ELj100EEvPKT0_PS4_
	.globl	_Z6kernelI6reduceILN6hipcub20BlockReduceAlgorithmE1EEiLj256ELj2ELj100EEvPKT0_PS4_
	.p2align	8
	.type	_Z6kernelI6reduceILN6hipcub20BlockReduceAlgorithmE1EEiLj256ELj2ELj100EEvPKT0_PS4_,@function
_Z6kernelI6reduceILN6hipcub20BlockReduceAlgorithmE1EEiLj256ELj2ELj100EEvPKT0_PS4_: ; @_Z6kernelI6reduceILN6hipcub20BlockReduceAlgorithmE1EEiLj256ELj2ELj100EEvPKT0_PS4_
; %bb.0:
	s_clause 0x1
	s_load_b32 s5, s[0:1], 0x1c
	s_load_b128 s[0:3], s[0:1], 0x0
	v_dual_mov_b32 v2, 0 :: v_dual_lshlrev_b32 v3, 2, v0
	v_mul_u32_u24_e32 v5, 28, v0
	v_mov_b32_e32 v4, 0x7c
	s_mov_b32 s4, s15
	s_delay_alu instid0(VALU_DEP_2) | instskip(SKIP_2) | instid1(SALU_CYCLE_1)
	v_add_nc_u32_e32 v5, v3, v5
	s_waitcnt lgkmcnt(0)
	s_and_b32 s5, s5, 0xffff
	s_mul_i32 s5, s15, s5
	s_delay_alu instid0(SALU_CYCLE_1) | instskip(NEXT) | instid1(VALU_DEP_1)
	v_add_lshl_u32 v1, s5, v0, 1
	v_lshlrev_b64 v[1:2], 2, v[1:2]
	s_delay_alu instid0(VALU_DEP_1) | instskip(NEXT) | instid1(VALU_DEP_2)
	v_add_co_u32 v1, vcc_lo, s0, v1
	v_add_co_ci_u32_e32 v2, vcc_lo, s1, v2, vcc_lo
	s_movk_i32 s0, 0x64
	global_load_b64 v[1:2], v[1:2], off
	s_set_inst_prefetch_distance 0x1
	.p2align	6
.LBB106_1:                              ; =>This Inner Loop Header: Depth=1
	s_waitcnt vmcnt(0) lgkmcnt(0)
	v_add_nc_u32_e32 v1, v2, v1
	s_add_i32 s0, s0, -1
	s_delay_alu instid0(SALU_CYCLE_1)
	s_cmp_eq_u32 s0, 0
	ds_store_b32 v3, v1
	s_waitcnt lgkmcnt(0)
	s_barrier
	buffer_gl0_inv
	ds_load_2addr_b64 v[6:9], v5 offset0:2 offset1:3
	ds_load_2addr_b64 v[10:13], v5 offset1:1
	s_waitcnt lgkmcnt(1)
	v_add_nc_u32_e32 v1, v7, v9
	s_waitcnt lgkmcnt(0)
	v_add_nc_u32_e32 v7, v11, v13
	v_add_nc_u32_e32 v9, v10, v12
	s_delay_alu instid0(VALU_DEP_3) | instskip(NEXT) | instid1(VALU_DEP_1)
	v_add3_u32 v1, v6, v8, v1
	v_add3_u32 v1, v9, v7, v1
	s_delay_alu instid0(VALU_DEP_1) | instskip(NEXT) | instid1(VALU_DEP_1)
	v_mov_b32_dpp v6, v1 quad_perm:[1,0,3,2] row_mask:0xf bank_mask:0xf
	v_add_nc_u32_e32 v1, v6, v1
	s_delay_alu instid0(VALU_DEP_1) | instskip(NEXT) | instid1(VALU_DEP_1)
	v_mov_b32_dpp v6, v1 quad_perm:[2,3,0,1] row_mask:0xf bank_mask:0xf
	v_add_nc_u32_e32 v1, v1, v6
	s_delay_alu instid0(VALU_DEP_1) | instskip(NEXT) | instid1(VALU_DEP_1)
	v_mov_b32_dpp v6, v1 row_ror:4 row_mask:0xf bank_mask:0xf
	v_add_nc_u32_e32 v1, v1, v6
	s_delay_alu instid0(VALU_DEP_1) | instskip(NEXT) | instid1(VALU_DEP_1)
	v_mov_b32_dpp v6, v1 row_ror:8 row_mask:0xf bank_mask:0xf
	v_add_nc_u32_e32 v1, v1, v6
	ds_swizzle_b32 v6, v1 offset:swizzle(BROADCAST,32,15)
	s_waitcnt lgkmcnt(0)
	v_add_nc_u32_e32 v1, v1, v6
	ds_bpermute_b32 v1, v4, v1
	s_cbranch_scc0 .LBB106_1
; %bb.2:
	s_set_inst_prefetch_distance 0x2
	s_mov_b32 s5, 0
	s_mov_b32 s0, exec_lo
	v_cmpx_eq_u32_e32 0, v0
	s_cbranch_execz .LBB106_4
; %bb.3:
	s_lshl_b64 s[0:1], s[4:5], 2
	v_mov_b32_e32 v0, 0
	s_add_u32 s0, s2, s0
	s_addc_u32 s1, s3, s1
	s_waitcnt lgkmcnt(0)
	global_store_b32 v0, v1, s[0:1]
.LBB106_4:
	s_nop 0
	s_sendmsg sendmsg(MSG_DEALLOC_VGPRS)
	s_endpgm
	.section	.rodata,"a",@progbits
	.p2align	6, 0x0
	.amdhsa_kernel _Z6kernelI6reduceILN6hipcub20BlockReduceAlgorithmE1EEiLj256ELj2ELj100EEvPKT0_PS4_
		.amdhsa_group_segment_fixed_size 1024
		.amdhsa_private_segment_fixed_size 0
		.amdhsa_kernarg_size 272
		.amdhsa_user_sgpr_count 15
		.amdhsa_user_sgpr_dispatch_ptr 0
		.amdhsa_user_sgpr_queue_ptr 0
		.amdhsa_user_sgpr_kernarg_segment_ptr 1
		.amdhsa_user_sgpr_dispatch_id 0
		.amdhsa_user_sgpr_private_segment_size 0
		.amdhsa_wavefront_size32 1
		.amdhsa_uses_dynamic_stack 0
		.amdhsa_enable_private_segment 0
		.amdhsa_system_sgpr_workgroup_id_x 1
		.amdhsa_system_sgpr_workgroup_id_y 0
		.amdhsa_system_sgpr_workgroup_id_z 0
		.amdhsa_system_sgpr_workgroup_info 0
		.amdhsa_system_vgpr_workitem_id 0
		.amdhsa_next_free_vgpr 14
		.amdhsa_next_free_sgpr 16
		.amdhsa_reserve_vcc 1
		.amdhsa_float_round_mode_32 0
		.amdhsa_float_round_mode_16_64 0
		.amdhsa_float_denorm_mode_32 3
		.amdhsa_float_denorm_mode_16_64 3
		.amdhsa_dx10_clamp 1
		.amdhsa_ieee_mode 1
		.amdhsa_fp16_overflow 0
		.amdhsa_workgroup_processor_mode 1
		.amdhsa_memory_ordered 1
		.amdhsa_forward_progress 0
		.amdhsa_shared_vgpr_count 0
		.amdhsa_exception_fp_ieee_invalid_op 0
		.amdhsa_exception_fp_denorm_src 0
		.amdhsa_exception_fp_ieee_div_zero 0
		.amdhsa_exception_fp_ieee_overflow 0
		.amdhsa_exception_fp_ieee_underflow 0
		.amdhsa_exception_fp_ieee_inexact 0
		.amdhsa_exception_int_div_zero 0
	.end_amdhsa_kernel
	.section	.text._Z6kernelI6reduceILN6hipcub20BlockReduceAlgorithmE1EEiLj256ELj2ELj100EEvPKT0_PS4_,"axG",@progbits,_Z6kernelI6reduceILN6hipcub20BlockReduceAlgorithmE1EEiLj256ELj2ELj100EEvPKT0_PS4_,comdat
.Lfunc_end106:
	.size	_Z6kernelI6reduceILN6hipcub20BlockReduceAlgorithmE1EEiLj256ELj2ELj100EEvPKT0_PS4_, .Lfunc_end106-_Z6kernelI6reduceILN6hipcub20BlockReduceAlgorithmE1EEiLj256ELj2ELj100EEvPKT0_PS4_
                                        ; -- End function
	.section	.AMDGPU.csdata,"",@progbits
; Kernel info:
; codeLenInByte = 372
; NumSgprs: 18
; NumVgprs: 14
; ScratchSize: 0
; MemoryBound: 0
; FloatMode: 240
; IeeeMode: 1
; LDSByteSize: 1024 bytes/workgroup (compile time only)
; SGPRBlocks: 2
; VGPRBlocks: 1
; NumSGPRsForWavesPerEU: 18
; NumVGPRsForWavesPerEU: 14
; Occupancy: 16
; WaveLimiterHint : 0
; COMPUTE_PGM_RSRC2:SCRATCH_EN: 0
; COMPUTE_PGM_RSRC2:USER_SGPR: 15
; COMPUTE_PGM_RSRC2:TRAP_HANDLER: 0
; COMPUTE_PGM_RSRC2:TGID_X_EN: 1
; COMPUTE_PGM_RSRC2:TGID_Y_EN: 0
; COMPUTE_PGM_RSRC2:TGID_Z_EN: 0
; COMPUTE_PGM_RSRC2:TIDIG_COMP_CNT: 0
	.section	.text._Z6kernelI6reduceILN6hipcub20BlockReduceAlgorithmE1EEiLj256ELj3ELj100EEvPKT0_PS4_,"axG",@progbits,_Z6kernelI6reduceILN6hipcub20BlockReduceAlgorithmE1EEiLj256ELj3ELj100EEvPKT0_PS4_,comdat
	.protected	_Z6kernelI6reduceILN6hipcub20BlockReduceAlgorithmE1EEiLj256ELj3ELj100EEvPKT0_PS4_ ; -- Begin function _Z6kernelI6reduceILN6hipcub20BlockReduceAlgorithmE1EEiLj256ELj3ELj100EEvPKT0_PS4_
	.globl	_Z6kernelI6reduceILN6hipcub20BlockReduceAlgorithmE1EEiLj256ELj3ELj100EEvPKT0_PS4_
	.p2align	8
	.type	_Z6kernelI6reduceILN6hipcub20BlockReduceAlgorithmE1EEiLj256ELj3ELj100EEvPKT0_PS4_,@function
_Z6kernelI6reduceILN6hipcub20BlockReduceAlgorithmE1EEiLj256ELj3ELj100EEvPKT0_PS4_: ; @_Z6kernelI6reduceILN6hipcub20BlockReduceAlgorithmE1EEiLj256ELj3ELj100EEvPKT0_PS4_
; %bb.0:
	s_load_b32 s2, s[0:1], 0x1c
	s_mov_b32 s4, s15
	s_waitcnt lgkmcnt(0)
	s_and_b32 s2, s2, 0xffff
	s_delay_alu instid0(SALU_CYCLE_1) | instskip(SKIP_1) | instid1(VALU_DEP_1)
	v_mad_u64_u32 v[1:2], null, s4, s2, v[0:1]
	s_load_b128 s[0:3], s[0:1], 0x0
	v_lshl_add_u32 v1, v1, 1, v1
	s_delay_alu instid0(VALU_DEP_1) | instskip(NEXT) | instid1(VALU_DEP_1)
	v_dual_mov_b32 v2, 0 :: v_dual_add_nc_u32 v3, 1, v1
	v_mov_b32_e32 v4, v2
	v_lshlrev_b64 v[5:6], 2, v[1:2]
	v_add_nc_u32_e32 v1, 2, v1
	s_delay_alu instid0(VALU_DEP_3) | instskip(NEXT) | instid1(VALU_DEP_2)
	v_lshlrev_b64 v[3:4], 2, v[3:4]
	v_lshlrev_b64 v[1:2], 2, v[1:2]
	s_waitcnt lgkmcnt(0)
	s_delay_alu instid0(VALU_DEP_4) | instskip(SKIP_1) | instid1(VALU_DEP_4)
	v_add_co_u32 v5, vcc_lo, s0, v5
	v_add_co_ci_u32_e32 v6, vcc_lo, s1, v6, vcc_lo
	v_add_co_u32 v7, vcc_lo, s0, v3
	v_add_co_ci_u32_e32 v8, vcc_lo, s1, v4, vcc_lo
	;; [unrolled: 2-line block ×3, first 2 shown]
	s_clause 0x2
	global_load_b32 v3, v[5:6], off
	global_load_b32 v1, v[7:8], off
	;; [unrolled: 1-line block ×3, first 2 shown]
	v_dual_mov_b32 v5, 0x7c :: v_dual_lshlrev_b32 v4, 2, v0
	v_mul_u32_u24_e32 v6, 28, v0
	s_movk_i32 s0, 0x64
	s_delay_alu instid0(VALU_DEP_1)
	v_add_nc_u32_e32 v6, v4, v6
	s_set_inst_prefetch_distance 0x1
	.p2align	6
.LBB107_1:                              ; =>This Inner Loop Header: Depth=1
	s_waitcnt vmcnt(0) lgkmcnt(0)
	v_add3_u32 v3, v1, v3, v2
	s_add_i32 s0, s0, -1
	s_delay_alu instid0(SALU_CYCLE_1)
	s_cmp_eq_u32 s0, 0
	ds_store_b32 v4, v3
	s_waitcnt lgkmcnt(0)
	s_barrier
	buffer_gl0_inv
	ds_load_2addr_b64 v[7:10], v6 offset0:2 offset1:3
	ds_load_2addr_b64 v[11:14], v6 offset1:1
	s_waitcnt lgkmcnt(1)
	v_add_nc_u32_e32 v3, v8, v10
	s_waitcnt lgkmcnt(0)
	v_add_nc_u32_e32 v8, v12, v14
	v_add_nc_u32_e32 v10, v11, v13
	s_delay_alu instid0(VALU_DEP_3) | instskip(NEXT) | instid1(VALU_DEP_1)
	v_add3_u32 v3, v7, v9, v3
	v_add3_u32 v3, v10, v8, v3
	s_delay_alu instid0(VALU_DEP_1) | instskip(NEXT) | instid1(VALU_DEP_1)
	v_mov_b32_dpp v7, v3 quad_perm:[1,0,3,2] row_mask:0xf bank_mask:0xf
	v_add_nc_u32_e32 v3, v7, v3
	s_delay_alu instid0(VALU_DEP_1) | instskip(NEXT) | instid1(VALU_DEP_1)
	v_mov_b32_dpp v7, v3 quad_perm:[2,3,0,1] row_mask:0xf bank_mask:0xf
	v_add_nc_u32_e32 v3, v3, v7
	s_delay_alu instid0(VALU_DEP_1) | instskip(NEXT) | instid1(VALU_DEP_1)
	v_mov_b32_dpp v7, v3 row_ror:4 row_mask:0xf bank_mask:0xf
	v_add_nc_u32_e32 v3, v3, v7
	s_delay_alu instid0(VALU_DEP_1) | instskip(NEXT) | instid1(VALU_DEP_1)
	v_mov_b32_dpp v7, v3 row_ror:8 row_mask:0xf bank_mask:0xf
	v_add_nc_u32_e32 v3, v3, v7
	ds_swizzle_b32 v7, v3 offset:swizzle(BROADCAST,32,15)
	s_waitcnt lgkmcnt(0)
	v_add_nc_u32_e32 v3, v3, v7
	ds_bpermute_b32 v3, v5, v3
	s_cbranch_scc0 .LBB107_1
; %bb.2:
	s_set_inst_prefetch_distance 0x2
	s_mov_b32 s5, 0
	s_mov_b32 s0, exec_lo
	v_cmpx_eq_u32_e32 0, v0
	s_cbranch_execz .LBB107_4
; %bb.3:
	s_lshl_b64 s[0:1], s[4:5], 2
	v_mov_b32_e32 v0, 0
	s_add_u32 s0, s2, s0
	s_addc_u32 s1, s3, s1
	s_waitcnt lgkmcnt(0)
	global_store_b32 v0, v3, s[0:1]
.LBB107_4:
	s_nop 0
	s_sendmsg sendmsg(MSG_DEALLOC_VGPRS)
	s_endpgm
	.section	.rodata,"a",@progbits
	.p2align	6, 0x0
	.amdhsa_kernel _Z6kernelI6reduceILN6hipcub20BlockReduceAlgorithmE1EEiLj256ELj3ELj100EEvPKT0_PS4_
		.amdhsa_group_segment_fixed_size 1024
		.amdhsa_private_segment_fixed_size 0
		.amdhsa_kernarg_size 272
		.amdhsa_user_sgpr_count 15
		.amdhsa_user_sgpr_dispatch_ptr 0
		.amdhsa_user_sgpr_queue_ptr 0
		.amdhsa_user_sgpr_kernarg_segment_ptr 1
		.amdhsa_user_sgpr_dispatch_id 0
		.amdhsa_user_sgpr_private_segment_size 0
		.amdhsa_wavefront_size32 1
		.amdhsa_uses_dynamic_stack 0
		.amdhsa_enable_private_segment 0
		.amdhsa_system_sgpr_workgroup_id_x 1
		.amdhsa_system_sgpr_workgroup_id_y 0
		.amdhsa_system_sgpr_workgroup_id_z 0
		.amdhsa_system_sgpr_workgroup_info 0
		.amdhsa_system_vgpr_workitem_id 0
		.amdhsa_next_free_vgpr 15
		.amdhsa_next_free_sgpr 16
		.amdhsa_reserve_vcc 1
		.amdhsa_float_round_mode_32 0
		.amdhsa_float_round_mode_16_64 0
		.amdhsa_float_denorm_mode_32 3
		.amdhsa_float_denorm_mode_16_64 3
		.amdhsa_dx10_clamp 1
		.amdhsa_ieee_mode 1
		.amdhsa_fp16_overflow 0
		.amdhsa_workgroup_processor_mode 1
		.amdhsa_memory_ordered 1
		.amdhsa_forward_progress 0
		.amdhsa_shared_vgpr_count 0
		.amdhsa_exception_fp_ieee_invalid_op 0
		.amdhsa_exception_fp_denorm_src 0
		.amdhsa_exception_fp_ieee_div_zero 0
		.amdhsa_exception_fp_ieee_overflow 0
		.amdhsa_exception_fp_ieee_underflow 0
		.amdhsa_exception_fp_ieee_inexact 0
		.amdhsa_exception_int_div_zero 0
	.end_amdhsa_kernel
	.section	.text._Z6kernelI6reduceILN6hipcub20BlockReduceAlgorithmE1EEiLj256ELj3ELj100EEvPKT0_PS4_,"axG",@progbits,_Z6kernelI6reduceILN6hipcub20BlockReduceAlgorithmE1EEiLj256ELj3ELj100EEvPKT0_PS4_,comdat
.Lfunc_end107:
	.size	_Z6kernelI6reduceILN6hipcub20BlockReduceAlgorithmE1EEiLj256ELj3ELj100EEvPKT0_PS4_, .Lfunc_end107-_Z6kernelI6reduceILN6hipcub20BlockReduceAlgorithmE1EEiLj256ELj3ELj100EEvPKT0_PS4_
                                        ; -- End function
	.section	.AMDGPU.csdata,"",@progbits
; Kernel info:
; codeLenInByte = 460
; NumSgprs: 18
; NumVgprs: 15
; ScratchSize: 0
; MemoryBound: 0
; FloatMode: 240
; IeeeMode: 1
; LDSByteSize: 1024 bytes/workgroup (compile time only)
; SGPRBlocks: 2
; VGPRBlocks: 1
; NumSGPRsForWavesPerEU: 18
; NumVGPRsForWavesPerEU: 15
; Occupancy: 16
; WaveLimiterHint : 0
; COMPUTE_PGM_RSRC2:SCRATCH_EN: 0
; COMPUTE_PGM_RSRC2:USER_SGPR: 15
; COMPUTE_PGM_RSRC2:TRAP_HANDLER: 0
; COMPUTE_PGM_RSRC2:TGID_X_EN: 1
; COMPUTE_PGM_RSRC2:TGID_Y_EN: 0
; COMPUTE_PGM_RSRC2:TGID_Z_EN: 0
; COMPUTE_PGM_RSRC2:TIDIG_COMP_CNT: 0
	.section	.text._Z6kernelI6reduceILN6hipcub20BlockReduceAlgorithmE1EEiLj256ELj4ELj100EEvPKT0_PS4_,"axG",@progbits,_Z6kernelI6reduceILN6hipcub20BlockReduceAlgorithmE1EEiLj256ELj4ELj100EEvPKT0_PS4_,comdat
	.protected	_Z6kernelI6reduceILN6hipcub20BlockReduceAlgorithmE1EEiLj256ELj4ELj100EEvPKT0_PS4_ ; -- Begin function _Z6kernelI6reduceILN6hipcub20BlockReduceAlgorithmE1EEiLj256ELj4ELj100EEvPKT0_PS4_
	.globl	_Z6kernelI6reduceILN6hipcub20BlockReduceAlgorithmE1EEiLj256ELj4ELj100EEvPKT0_PS4_
	.p2align	8
	.type	_Z6kernelI6reduceILN6hipcub20BlockReduceAlgorithmE1EEiLj256ELj4ELj100EEvPKT0_PS4_,@function
_Z6kernelI6reduceILN6hipcub20BlockReduceAlgorithmE1EEiLj256ELj4ELj100EEvPKT0_PS4_: ; @_Z6kernelI6reduceILN6hipcub20BlockReduceAlgorithmE1EEiLj256ELj4ELj100EEvPKT0_PS4_
; %bb.0:
	s_clause 0x1
	s_load_b32 s5, s[0:1], 0x1c
	s_load_b128 s[0:3], s[0:1], 0x0
	v_dual_mov_b32 v2, 0 :: v_dual_lshlrev_b32 v5, 2, v0
	v_mul_u32_u24_e32 v7, 28, v0
	v_mov_b32_e32 v6, 0x7c
	s_mov_b32 s4, s15
	s_delay_alu instid0(VALU_DEP_2) | instskip(SKIP_2) | instid1(SALU_CYCLE_1)
	v_add_nc_u32_e32 v7, v5, v7
	s_waitcnt lgkmcnt(0)
	s_and_b32 s5, s5, 0xffff
	s_mul_i32 s5, s15, s5
	s_delay_alu instid0(SALU_CYCLE_1) | instskip(NEXT) | instid1(VALU_DEP_1)
	v_add_lshl_u32 v1, s5, v0, 2
	v_lshlrev_b64 v[1:2], 2, v[1:2]
	s_delay_alu instid0(VALU_DEP_1) | instskip(NEXT) | instid1(VALU_DEP_2)
	v_add_co_u32 v1, vcc_lo, s0, v1
	v_add_co_ci_u32_e32 v2, vcc_lo, s1, v2, vcc_lo
	s_movk_i32 s0, 0x64
	global_load_b128 v[1:4], v[1:2], off
	s_set_inst_prefetch_distance 0x1
	.p2align	6
.LBB108_1:                              ; =>This Inner Loop Header: Depth=1
	s_waitcnt vmcnt(0) lgkmcnt(0)
	v_add_nc_u32_e32 v1, v2, v1
	s_add_i32 s0, s0, -1
	s_delay_alu instid0(SALU_CYCLE_1) | instskip(NEXT) | instid1(VALU_DEP_1)
	s_cmp_eq_u32 s0, 0
	v_add3_u32 v1, v1, v3, v4
	ds_store_b32 v5, v1
	s_waitcnt lgkmcnt(0)
	s_barrier
	buffer_gl0_inv
	ds_load_2addr_b64 v[8:11], v7 offset0:2 offset1:3
	ds_load_2addr_b64 v[12:15], v7 offset1:1
	s_waitcnt lgkmcnt(1)
	v_add_nc_u32_e32 v1, v9, v11
	s_waitcnt lgkmcnt(0)
	v_add_nc_u32_e32 v9, v13, v15
	v_add_nc_u32_e32 v11, v12, v14
	s_delay_alu instid0(VALU_DEP_3) | instskip(NEXT) | instid1(VALU_DEP_1)
	v_add3_u32 v1, v8, v10, v1
	v_add3_u32 v1, v11, v9, v1
	s_delay_alu instid0(VALU_DEP_1) | instskip(NEXT) | instid1(VALU_DEP_1)
	v_mov_b32_dpp v8, v1 quad_perm:[1,0,3,2] row_mask:0xf bank_mask:0xf
	v_add_nc_u32_e32 v1, v8, v1
	s_delay_alu instid0(VALU_DEP_1) | instskip(NEXT) | instid1(VALU_DEP_1)
	v_mov_b32_dpp v8, v1 quad_perm:[2,3,0,1] row_mask:0xf bank_mask:0xf
	v_add_nc_u32_e32 v1, v1, v8
	s_delay_alu instid0(VALU_DEP_1) | instskip(NEXT) | instid1(VALU_DEP_1)
	v_mov_b32_dpp v8, v1 row_ror:4 row_mask:0xf bank_mask:0xf
	v_add_nc_u32_e32 v1, v1, v8
	s_delay_alu instid0(VALU_DEP_1) | instskip(NEXT) | instid1(VALU_DEP_1)
	v_mov_b32_dpp v8, v1 row_ror:8 row_mask:0xf bank_mask:0xf
	v_add_nc_u32_e32 v1, v1, v8
	ds_swizzle_b32 v8, v1 offset:swizzle(BROADCAST,32,15)
	s_waitcnt lgkmcnt(0)
	v_add_nc_u32_e32 v1, v1, v8
	ds_bpermute_b32 v1, v6, v1
	s_cbranch_scc0 .LBB108_1
; %bb.2:
	s_set_inst_prefetch_distance 0x2
	s_mov_b32 s5, 0
	s_mov_b32 s0, exec_lo
	v_cmpx_eq_u32_e32 0, v0
	s_cbranch_execz .LBB108_4
; %bb.3:
	s_lshl_b64 s[0:1], s[4:5], 2
	v_mov_b32_e32 v0, 0
	s_add_u32 s0, s2, s0
	s_addc_u32 s1, s3, s1
	s_waitcnt lgkmcnt(0)
	global_store_b32 v0, v1, s[0:1]
.LBB108_4:
	s_nop 0
	s_sendmsg sendmsg(MSG_DEALLOC_VGPRS)
	s_endpgm
	.section	.rodata,"a",@progbits
	.p2align	6, 0x0
	.amdhsa_kernel _Z6kernelI6reduceILN6hipcub20BlockReduceAlgorithmE1EEiLj256ELj4ELj100EEvPKT0_PS4_
		.amdhsa_group_segment_fixed_size 1024
		.amdhsa_private_segment_fixed_size 0
		.amdhsa_kernarg_size 272
		.amdhsa_user_sgpr_count 15
		.amdhsa_user_sgpr_dispatch_ptr 0
		.amdhsa_user_sgpr_queue_ptr 0
		.amdhsa_user_sgpr_kernarg_segment_ptr 1
		.amdhsa_user_sgpr_dispatch_id 0
		.amdhsa_user_sgpr_private_segment_size 0
		.amdhsa_wavefront_size32 1
		.amdhsa_uses_dynamic_stack 0
		.amdhsa_enable_private_segment 0
		.amdhsa_system_sgpr_workgroup_id_x 1
		.amdhsa_system_sgpr_workgroup_id_y 0
		.amdhsa_system_sgpr_workgroup_id_z 0
		.amdhsa_system_sgpr_workgroup_info 0
		.amdhsa_system_vgpr_workitem_id 0
		.amdhsa_next_free_vgpr 16
		.amdhsa_next_free_sgpr 16
		.amdhsa_reserve_vcc 1
		.amdhsa_float_round_mode_32 0
		.amdhsa_float_round_mode_16_64 0
		.amdhsa_float_denorm_mode_32 3
		.amdhsa_float_denorm_mode_16_64 3
		.amdhsa_dx10_clamp 1
		.amdhsa_ieee_mode 1
		.amdhsa_fp16_overflow 0
		.amdhsa_workgroup_processor_mode 1
		.amdhsa_memory_ordered 1
		.amdhsa_forward_progress 0
		.amdhsa_shared_vgpr_count 0
		.amdhsa_exception_fp_ieee_invalid_op 0
		.amdhsa_exception_fp_denorm_src 0
		.amdhsa_exception_fp_ieee_div_zero 0
		.amdhsa_exception_fp_ieee_overflow 0
		.amdhsa_exception_fp_ieee_underflow 0
		.amdhsa_exception_fp_ieee_inexact 0
		.amdhsa_exception_int_div_zero 0
	.end_amdhsa_kernel
	.section	.text._Z6kernelI6reduceILN6hipcub20BlockReduceAlgorithmE1EEiLj256ELj4ELj100EEvPKT0_PS4_,"axG",@progbits,_Z6kernelI6reduceILN6hipcub20BlockReduceAlgorithmE1EEiLj256ELj4ELj100EEvPKT0_PS4_,comdat
.Lfunc_end108:
	.size	_Z6kernelI6reduceILN6hipcub20BlockReduceAlgorithmE1EEiLj256ELj4ELj100EEvPKT0_PS4_, .Lfunc_end108-_Z6kernelI6reduceILN6hipcub20BlockReduceAlgorithmE1EEiLj256ELj4ELj100EEvPKT0_PS4_
                                        ; -- End function
	.section	.AMDGPU.csdata,"",@progbits
; Kernel info:
; codeLenInByte = 380
; NumSgprs: 18
; NumVgprs: 16
; ScratchSize: 0
; MemoryBound: 0
; FloatMode: 240
; IeeeMode: 1
; LDSByteSize: 1024 bytes/workgroup (compile time only)
; SGPRBlocks: 2
; VGPRBlocks: 1
; NumSGPRsForWavesPerEU: 18
; NumVGPRsForWavesPerEU: 16
; Occupancy: 16
; WaveLimiterHint : 0
; COMPUTE_PGM_RSRC2:SCRATCH_EN: 0
; COMPUTE_PGM_RSRC2:USER_SGPR: 15
; COMPUTE_PGM_RSRC2:TRAP_HANDLER: 0
; COMPUTE_PGM_RSRC2:TGID_X_EN: 1
; COMPUTE_PGM_RSRC2:TGID_Y_EN: 0
; COMPUTE_PGM_RSRC2:TGID_Z_EN: 0
; COMPUTE_PGM_RSRC2:TIDIG_COMP_CNT: 0
	.section	.text._Z6kernelI6reduceILN6hipcub20BlockReduceAlgorithmE1EEiLj256ELj8ELj100EEvPKT0_PS4_,"axG",@progbits,_Z6kernelI6reduceILN6hipcub20BlockReduceAlgorithmE1EEiLj256ELj8ELj100EEvPKT0_PS4_,comdat
	.protected	_Z6kernelI6reduceILN6hipcub20BlockReduceAlgorithmE1EEiLj256ELj8ELj100EEvPKT0_PS4_ ; -- Begin function _Z6kernelI6reduceILN6hipcub20BlockReduceAlgorithmE1EEiLj256ELj8ELj100EEvPKT0_PS4_
	.globl	_Z6kernelI6reduceILN6hipcub20BlockReduceAlgorithmE1EEiLj256ELj8ELj100EEvPKT0_PS4_
	.p2align	8
	.type	_Z6kernelI6reduceILN6hipcub20BlockReduceAlgorithmE1EEiLj256ELj8ELj100EEvPKT0_PS4_,@function
_Z6kernelI6reduceILN6hipcub20BlockReduceAlgorithmE1EEiLj256ELj8ELj100EEvPKT0_PS4_: ; @_Z6kernelI6reduceILN6hipcub20BlockReduceAlgorithmE1EEiLj256ELj8ELj100EEvPKT0_PS4_
; %bb.0:
	s_clause 0x1
	s_load_b32 s5, s[0:1], 0x1c
	s_load_b128 s[0:3], s[0:1], 0x0
	v_dual_mov_b32 v2, 0 :: v_dual_lshlrev_b32 v9, 2, v0
	v_mul_u32_u24_e32 v11, 28, v0
	v_mov_b32_e32 v10, 0x7c
	s_mov_b32 s4, s15
	s_delay_alu instid0(VALU_DEP_2) | instskip(SKIP_2) | instid1(SALU_CYCLE_1)
	v_add_nc_u32_e32 v11, v9, v11
	s_waitcnt lgkmcnt(0)
	s_and_b32 s5, s5, 0xffff
	s_mul_i32 s5, s15, s5
	s_delay_alu instid0(SALU_CYCLE_1) | instskip(NEXT) | instid1(VALU_DEP_1)
	v_add_lshl_u32 v1, s5, v0, 3
	v_lshlrev_b64 v[1:2], 2, v[1:2]
	s_delay_alu instid0(VALU_DEP_1) | instskip(NEXT) | instid1(VALU_DEP_2)
	v_add_co_u32 v5, vcc_lo, s0, v1
	v_add_co_ci_u32_e32 v6, vcc_lo, s1, v2, vcc_lo
	s_movk_i32 s0, 0x64
	s_clause 0x1
	global_load_b128 v[1:4], v[5:6], off
	global_load_b128 v[5:8], v[5:6], off offset:16
	s_set_inst_prefetch_distance 0x1
	.p2align	6
.LBB109_1:                              ; =>This Inner Loop Header: Depth=1
	s_waitcnt vmcnt(1) lgkmcnt(0)
	v_add_nc_u32_e32 v1, v2, v1
	s_add_i32 s0, s0, -1
	s_delay_alu instid0(SALU_CYCLE_1) | instskip(NEXT) | instid1(VALU_DEP_1)
	s_cmp_eq_u32 s0, 0
	v_add3_u32 v1, v1, v3, v4
	s_waitcnt vmcnt(0)
	s_delay_alu instid0(VALU_DEP_1) | instskip(NEXT) | instid1(VALU_DEP_1)
	v_add3_u32 v1, v1, v5, v6
	v_add3_u32 v1, v1, v7, v8
	ds_store_b32 v9, v1
	s_waitcnt lgkmcnt(0)
	s_barrier
	buffer_gl0_inv
	ds_load_2addr_b64 v[12:15], v11 offset0:2 offset1:3
	ds_load_2addr_b64 v[16:19], v11 offset1:1
	s_waitcnt lgkmcnt(1)
	v_add_nc_u32_e32 v1, v13, v15
	s_waitcnt lgkmcnt(0)
	v_add_nc_u32_e32 v13, v17, v19
	v_add_nc_u32_e32 v15, v16, v18
	s_delay_alu instid0(VALU_DEP_3) | instskip(NEXT) | instid1(VALU_DEP_1)
	v_add3_u32 v1, v12, v14, v1
	v_add3_u32 v1, v15, v13, v1
	s_delay_alu instid0(VALU_DEP_1) | instskip(NEXT) | instid1(VALU_DEP_1)
	v_mov_b32_dpp v12, v1 quad_perm:[1,0,3,2] row_mask:0xf bank_mask:0xf
	v_add_nc_u32_e32 v1, v12, v1
	s_delay_alu instid0(VALU_DEP_1) | instskip(NEXT) | instid1(VALU_DEP_1)
	v_mov_b32_dpp v12, v1 quad_perm:[2,3,0,1] row_mask:0xf bank_mask:0xf
	v_add_nc_u32_e32 v1, v1, v12
	s_delay_alu instid0(VALU_DEP_1) | instskip(NEXT) | instid1(VALU_DEP_1)
	v_mov_b32_dpp v12, v1 row_ror:4 row_mask:0xf bank_mask:0xf
	v_add_nc_u32_e32 v1, v1, v12
	s_delay_alu instid0(VALU_DEP_1) | instskip(NEXT) | instid1(VALU_DEP_1)
	v_mov_b32_dpp v12, v1 row_ror:8 row_mask:0xf bank_mask:0xf
	v_add_nc_u32_e32 v1, v1, v12
	ds_swizzle_b32 v12, v1 offset:swizzle(BROADCAST,32,15)
	s_waitcnt lgkmcnt(0)
	v_add_nc_u32_e32 v1, v1, v12
	ds_bpermute_b32 v1, v10, v1
	s_cbranch_scc0 .LBB109_1
; %bb.2:
	s_set_inst_prefetch_distance 0x2
	s_mov_b32 s5, 0
	s_mov_b32 s0, exec_lo
	v_cmpx_eq_u32_e32 0, v0
	s_cbranch_execz .LBB109_4
; %bb.3:
	s_lshl_b64 s[0:1], s[4:5], 2
	v_mov_b32_e32 v0, 0
	s_add_u32 s0, s2, s0
	s_addc_u32 s1, s3, s1
	s_waitcnt lgkmcnt(0)
	global_store_b32 v0, v1, s[0:1]
.LBB109_4:
	s_nop 0
	s_sendmsg sendmsg(MSG_DEALLOC_VGPRS)
	s_endpgm
	.section	.rodata,"a",@progbits
	.p2align	6, 0x0
	.amdhsa_kernel _Z6kernelI6reduceILN6hipcub20BlockReduceAlgorithmE1EEiLj256ELj8ELj100EEvPKT0_PS4_
		.amdhsa_group_segment_fixed_size 1024
		.amdhsa_private_segment_fixed_size 0
		.amdhsa_kernarg_size 272
		.amdhsa_user_sgpr_count 15
		.amdhsa_user_sgpr_dispatch_ptr 0
		.amdhsa_user_sgpr_queue_ptr 0
		.amdhsa_user_sgpr_kernarg_segment_ptr 1
		.amdhsa_user_sgpr_dispatch_id 0
		.amdhsa_user_sgpr_private_segment_size 0
		.amdhsa_wavefront_size32 1
		.amdhsa_uses_dynamic_stack 0
		.amdhsa_enable_private_segment 0
		.amdhsa_system_sgpr_workgroup_id_x 1
		.amdhsa_system_sgpr_workgroup_id_y 0
		.amdhsa_system_sgpr_workgroup_id_z 0
		.amdhsa_system_sgpr_workgroup_info 0
		.amdhsa_system_vgpr_workitem_id 0
		.amdhsa_next_free_vgpr 20
		.amdhsa_next_free_sgpr 16
		.amdhsa_reserve_vcc 1
		.amdhsa_float_round_mode_32 0
		.amdhsa_float_round_mode_16_64 0
		.amdhsa_float_denorm_mode_32 3
		.amdhsa_float_denorm_mode_16_64 3
		.amdhsa_dx10_clamp 1
		.amdhsa_ieee_mode 1
		.amdhsa_fp16_overflow 0
		.amdhsa_workgroup_processor_mode 1
		.amdhsa_memory_ordered 1
		.amdhsa_forward_progress 0
		.amdhsa_shared_vgpr_count 0
		.amdhsa_exception_fp_ieee_invalid_op 0
		.amdhsa_exception_fp_denorm_src 0
		.amdhsa_exception_fp_ieee_div_zero 0
		.amdhsa_exception_fp_ieee_overflow 0
		.amdhsa_exception_fp_ieee_underflow 0
		.amdhsa_exception_fp_ieee_inexact 0
		.amdhsa_exception_int_div_zero 0
	.end_amdhsa_kernel
	.section	.text._Z6kernelI6reduceILN6hipcub20BlockReduceAlgorithmE1EEiLj256ELj8ELj100EEvPKT0_PS4_,"axG",@progbits,_Z6kernelI6reduceILN6hipcub20BlockReduceAlgorithmE1EEiLj256ELj8ELj100EEvPKT0_PS4_,comdat
.Lfunc_end109:
	.size	_Z6kernelI6reduceILN6hipcub20BlockReduceAlgorithmE1EEiLj256ELj8ELj100EEvPKT0_PS4_, .Lfunc_end109-_Z6kernelI6reduceILN6hipcub20BlockReduceAlgorithmE1EEiLj256ELj8ELj100EEvPKT0_PS4_
                                        ; -- End function
	.section	.AMDGPU.csdata,"",@progbits
; Kernel info:
; codeLenInByte = 416
; NumSgprs: 18
; NumVgprs: 20
; ScratchSize: 0
; MemoryBound: 0
; FloatMode: 240
; IeeeMode: 1
; LDSByteSize: 1024 bytes/workgroup (compile time only)
; SGPRBlocks: 2
; VGPRBlocks: 2
; NumSGPRsForWavesPerEU: 18
; NumVGPRsForWavesPerEU: 20
; Occupancy: 16
; WaveLimiterHint : 0
; COMPUTE_PGM_RSRC2:SCRATCH_EN: 0
; COMPUTE_PGM_RSRC2:USER_SGPR: 15
; COMPUTE_PGM_RSRC2:TRAP_HANDLER: 0
; COMPUTE_PGM_RSRC2:TGID_X_EN: 1
; COMPUTE_PGM_RSRC2:TGID_Y_EN: 0
; COMPUTE_PGM_RSRC2:TGID_Z_EN: 0
; COMPUTE_PGM_RSRC2:TIDIG_COMP_CNT: 0
	.section	.text._Z6kernelI6reduceILN6hipcub20BlockReduceAlgorithmE1EEiLj256ELj11ELj100EEvPKT0_PS4_,"axG",@progbits,_Z6kernelI6reduceILN6hipcub20BlockReduceAlgorithmE1EEiLj256ELj11ELj100EEvPKT0_PS4_,comdat
	.protected	_Z6kernelI6reduceILN6hipcub20BlockReduceAlgorithmE1EEiLj256ELj11ELj100EEvPKT0_PS4_ ; -- Begin function _Z6kernelI6reduceILN6hipcub20BlockReduceAlgorithmE1EEiLj256ELj11ELj100EEvPKT0_PS4_
	.globl	_Z6kernelI6reduceILN6hipcub20BlockReduceAlgorithmE1EEiLj256ELj11ELj100EEvPKT0_PS4_
	.p2align	8
	.type	_Z6kernelI6reduceILN6hipcub20BlockReduceAlgorithmE1EEiLj256ELj11ELj100EEvPKT0_PS4_,@function
_Z6kernelI6reduceILN6hipcub20BlockReduceAlgorithmE1EEiLj256ELj11ELj100EEvPKT0_PS4_: ; @_Z6kernelI6reduceILN6hipcub20BlockReduceAlgorithmE1EEiLj256ELj11ELj100EEvPKT0_PS4_
; %bb.0:
	s_load_b32 s2, s[0:1], 0x1c
	s_mov_b32 s4, s15
	s_waitcnt lgkmcnt(0)
	s_and_b32 s2, s2, 0xffff
	s_delay_alu instid0(SALU_CYCLE_1) | instskip(SKIP_1) | instid1(VALU_DEP_1)
	v_mad_u64_u32 v[1:2], null, s4, s2, v[0:1]
	s_load_b128 s[0:3], s[0:1], 0x0
	v_mul_lo_u32 v1, v1, 11
	s_delay_alu instid0(VALU_DEP_1) | instskip(NEXT) | instid1(VALU_DEP_1)
	v_dual_mov_b32 v2, 0 :: v_dual_add_nc_u32 v3, 1, v1
	v_dual_mov_b32 v4, v2 :: v_dual_add_nc_u32 v5, 2, v1
	;; [unrolled: 1-line block ×4, first 2 shown]
	s_delay_alu instid0(VALU_DEP_3) | instskip(NEXT) | instid1(VALU_DEP_3)
	v_lshlrev_b64 v[3:4], 2, v[3:4]
	v_lshlrev_b64 v[5:6], 2, v[5:6]
	v_dual_mov_b32 v10, v2 :: v_dual_add_nc_u32 v11, 5, v1
	s_delay_alu instid0(VALU_DEP_4)
	v_lshlrev_b64 v[7:8], 2, v[7:8]
	v_dual_mov_b32 v12, v2 :: v_dual_add_nc_u32 v13, 6, v1
	s_waitcnt lgkmcnt(0)
	v_add_co_u32 v3, vcc_lo, s0, v3
	v_add_co_ci_u32_e32 v4, vcc_lo, s1, v4, vcc_lo
	v_lshlrev_b64 v[9:10], 2, v[9:10]
	v_add_co_u32 v5, vcc_lo, s0, v5
	v_dual_mov_b32 v14, v2 :: v_dual_add_nc_u32 v15, 7, v1
	v_add_co_ci_u32_e32 v6, vcc_lo, s1, v6, vcc_lo
	v_lshlrev_b64 v[11:12], 2, v[11:12]
	v_add_co_u32 v7, vcc_lo, s0, v7
	v_add_co_ci_u32_e32 v8, vcc_lo, s1, v8, vcc_lo
	v_lshlrev_b64 v[13:14], 2, v[13:14]
	v_add_co_u32 v9, vcc_lo, s0, v9
	v_dual_mov_b32 v16, v2 :: v_dual_add_nc_u32 v19, 8, v1
	v_add_co_ci_u32_e32 v10, vcc_lo, s1, v10, vcc_lo
	v_add_co_u32 v11, vcc_lo, s0, v11
	v_add_co_ci_u32_e32 v12, vcc_lo, s1, v12, vcc_lo
	v_mov_b32_e32 v20, v2
	v_add_co_u32 v13, vcc_lo, s0, v13
	v_lshlrev_b64 v[15:16], 2, v[15:16]
	v_add_co_ci_u32_e32 v14, vcc_lo, s1, v14, vcc_lo
	s_clause 0x5
	global_load_b32 v21, v[3:4], off
	global_load_b32 v22, v[5:6], off
	;; [unrolled: 1-line block ×6, first 2 shown]
	v_dual_mov_b32 v6, v2 :: v_dual_add_nc_u32 v5, 9, v1
	v_lshlrev_b64 v[3:4], 2, v[19:20]
	v_lshlrev_b64 v[17:18], 2, v[1:2]
	v_add_nc_u32_e32 v1, 10, v1
	v_add_co_u32 v7, vcc_lo, s0, v15
	v_lshlrev_b64 v[5:6], 2, v[5:6]
	v_add_co_ci_u32_e32 v8, vcc_lo, s1, v16, vcc_lo
	v_add_co_u32 v3, vcc_lo, s0, v3
	v_lshlrev_b64 v[1:2], 2, v[1:2]
	v_add_co_ci_u32_e32 v4, vcc_lo, s1, v4, vcc_lo
	v_add_co_u32 v5, vcc_lo, s0, v5
	v_add_co_ci_u32_e32 v6, vcc_lo, s1, v6, vcc_lo
	s_delay_alu instid0(VALU_DEP_4)
	v_add_co_u32 v1, vcc_lo, s0, v1
	v_add_co_ci_u32_e32 v2, vcc_lo, s1, v2, vcc_lo
	s_clause 0x3
	global_load_b32 v7, v[7:8], off
	global_load_b32 v3, v[3:4], off
	;; [unrolled: 1-line block ×4, first 2 shown]
	v_add_co_u32 v1, vcc_lo, s0, v17
	v_add_co_ci_u32_e32 v2, vcc_lo, s1, v18, vcc_lo
	s_movk_i32 s0, 0x64
	global_load_b32 v1, v[1:2], off
	s_waitcnt vmcnt(9)
	v_add_nc_u32_e32 v2, v22, v21
	s_waitcnt vmcnt(7)
	s_delay_alu instid0(VALU_DEP_1) | instskip(SKIP_1) | instid1(VALU_DEP_1)
	v_add3_u32 v2, v2, v23, v9
	s_waitcnt vmcnt(5)
	v_add3_u32 v6, v2, v10, v11
	v_lshlrev_b32_e32 v2, 2, v0
	s_waitcnt vmcnt(3)
	s_delay_alu instid0(VALU_DEP_2) | instskip(SKIP_3) | instid1(VALU_DEP_3)
	v_add3_u32 v6, v6, v7, v3
	v_mov_b32_e32 v3, 0x7c
	v_mul_u32_u24_e32 v7, 28, v0
	s_waitcnt vmcnt(1)
	v_add3_u32 v4, v6, v4, v5
	s_delay_alu instid0(VALU_DEP_2)
	v_add_nc_u32_e32 v5, v2, v7
	s_set_inst_prefetch_distance 0x1
	.p2align	6
.LBB110_1:                              ; =>This Inner Loop Header: Depth=1
	s_waitcnt vmcnt(0) lgkmcnt(0)
	s_delay_alu instid0(VALU_DEP_2) | instskip(SKIP_1) | instid1(SALU_CYCLE_1)
	v_add_nc_u32_e32 v1, v4, v1
	s_add_i32 s0, s0, -1
	s_cmp_eq_u32 s0, 0
	ds_store_b32 v2, v1
	s_waitcnt lgkmcnt(0)
	s_barrier
	buffer_gl0_inv
	ds_load_2addr_b64 v[6:9], v5 offset0:2 offset1:3
	ds_load_2addr_b64 v[10:13], v5 offset1:1
	s_waitcnt lgkmcnt(1)
	v_add_nc_u32_e32 v1, v7, v9
	s_waitcnt lgkmcnt(0)
	v_add_nc_u32_e32 v7, v11, v13
	v_add_nc_u32_e32 v9, v10, v12
	s_delay_alu instid0(VALU_DEP_3) | instskip(NEXT) | instid1(VALU_DEP_1)
	v_add3_u32 v1, v6, v8, v1
	v_add3_u32 v1, v9, v7, v1
	s_delay_alu instid0(VALU_DEP_1) | instskip(NEXT) | instid1(VALU_DEP_1)
	v_mov_b32_dpp v6, v1 quad_perm:[1,0,3,2] row_mask:0xf bank_mask:0xf
	v_add_nc_u32_e32 v1, v6, v1
	s_delay_alu instid0(VALU_DEP_1) | instskip(NEXT) | instid1(VALU_DEP_1)
	v_mov_b32_dpp v6, v1 quad_perm:[2,3,0,1] row_mask:0xf bank_mask:0xf
	v_add_nc_u32_e32 v1, v1, v6
	s_delay_alu instid0(VALU_DEP_1) | instskip(NEXT) | instid1(VALU_DEP_1)
	v_mov_b32_dpp v6, v1 row_ror:4 row_mask:0xf bank_mask:0xf
	v_add_nc_u32_e32 v1, v1, v6
	s_delay_alu instid0(VALU_DEP_1) | instskip(NEXT) | instid1(VALU_DEP_1)
	v_mov_b32_dpp v6, v1 row_ror:8 row_mask:0xf bank_mask:0xf
	v_add_nc_u32_e32 v1, v1, v6
	ds_swizzle_b32 v6, v1 offset:swizzle(BROADCAST,32,15)
	s_waitcnt lgkmcnt(0)
	v_add_nc_u32_e32 v1, v1, v6
	ds_bpermute_b32 v1, v3, v1
	s_cbranch_scc0 .LBB110_1
; %bb.2:
	s_set_inst_prefetch_distance 0x2
	s_mov_b32 s5, 0
	s_mov_b32 s0, exec_lo
	v_cmpx_eq_u32_e32 0, v0
	s_cbranch_execz .LBB110_4
; %bb.3:
	s_lshl_b64 s[0:1], s[4:5], 2
	v_mov_b32_e32 v0, 0
	s_add_u32 s0, s2, s0
	s_addc_u32 s1, s3, s1
	s_waitcnt lgkmcnt(0)
	global_store_b32 v0, v1, s[0:1]
.LBB110_4:
	s_nop 0
	s_sendmsg sendmsg(MSG_DEALLOC_VGPRS)
	s_endpgm
	.section	.rodata,"a",@progbits
	.p2align	6, 0x0
	.amdhsa_kernel _Z6kernelI6reduceILN6hipcub20BlockReduceAlgorithmE1EEiLj256ELj11ELj100EEvPKT0_PS4_
		.amdhsa_group_segment_fixed_size 1024
		.amdhsa_private_segment_fixed_size 0
		.amdhsa_kernarg_size 272
		.amdhsa_user_sgpr_count 15
		.amdhsa_user_sgpr_dispatch_ptr 0
		.amdhsa_user_sgpr_queue_ptr 0
		.amdhsa_user_sgpr_kernarg_segment_ptr 1
		.amdhsa_user_sgpr_dispatch_id 0
		.amdhsa_user_sgpr_private_segment_size 0
		.amdhsa_wavefront_size32 1
		.amdhsa_uses_dynamic_stack 0
		.amdhsa_enable_private_segment 0
		.amdhsa_system_sgpr_workgroup_id_x 1
		.amdhsa_system_sgpr_workgroup_id_y 0
		.amdhsa_system_sgpr_workgroup_id_z 0
		.amdhsa_system_sgpr_workgroup_info 0
		.amdhsa_system_vgpr_workitem_id 0
		.amdhsa_next_free_vgpr 24
		.amdhsa_next_free_sgpr 16
		.amdhsa_reserve_vcc 1
		.amdhsa_float_round_mode_32 0
		.amdhsa_float_round_mode_16_64 0
		.amdhsa_float_denorm_mode_32 3
		.amdhsa_float_denorm_mode_16_64 3
		.amdhsa_dx10_clamp 1
		.amdhsa_ieee_mode 1
		.amdhsa_fp16_overflow 0
		.amdhsa_workgroup_processor_mode 1
		.amdhsa_memory_ordered 1
		.amdhsa_forward_progress 0
		.amdhsa_shared_vgpr_count 0
		.amdhsa_exception_fp_ieee_invalid_op 0
		.amdhsa_exception_fp_denorm_src 0
		.amdhsa_exception_fp_ieee_div_zero 0
		.amdhsa_exception_fp_ieee_overflow 0
		.amdhsa_exception_fp_ieee_underflow 0
		.amdhsa_exception_fp_ieee_inexact 0
		.amdhsa_exception_int_div_zero 0
	.end_amdhsa_kernel
	.section	.text._Z6kernelI6reduceILN6hipcub20BlockReduceAlgorithmE1EEiLj256ELj11ELj100EEvPKT0_PS4_,"axG",@progbits,_Z6kernelI6reduceILN6hipcub20BlockReduceAlgorithmE1EEiLj256ELj11ELj100EEvPKT0_PS4_,comdat
.Lfunc_end110:
	.size	_Z6kernelI6reduceILN6hipcub20BlockReduceAlgorithmE1EEiLj256ELj11ELj100EEvPKT0_PS4_, .Lfunc_end110-_Z6kernelI6reduceILN6hipcub20BlockReduceAlgorithmE1EEiLj256ELj11ELj100EEvPKT0_PS4_
                                        ; -- End function
	.section	.AMDGPU.csdata,"",@progbits
; Kernel info:
; codeLenInByte = 816
; NumSgprs: 18
; NumVgprs: 24
; ScratchSize: 0
; MemoryBound: 0
; FloatMode: 240
; IeeeMode: 1
; LDSByteSize: 1024 bytes/workgroup (compile time only)
; SGPRBlocks: 2
; VGPRBlocks: 2
; NumSGPRsForWavesPerEU: 18
; NumVGPRsForWavesPerEU: 24
; Occupancy: 16
; WaveLimiterHint : 0
; COMPUTE_PGM_RSRC2:SCRATCH_EN: 0
; COMPUTE_PGM_RSRC2:USER_SGPR: 15
; COMPUTE_PGM_RSRC2:TRAP_HANDLER: 0
; COMPUTE_PGM_RSRC2:TGID_X_EN: 1
; COMPUTE_PGM_RSRC2:TGID_Y_EN: 0
; COMPUTE_PGM_RSRC2:TGID_Z_EN: 0
; COMPUTE_PGM_RSRC2:TIDIG_COMP_CNT: 0
	.section	.text._Z6kernelI6reduceILN6hipcub20BlockReduceAlgorithmE1EEiLj256ELj16ELj100EEvPKT0_PS4_,"axG",@progbits,_Z6kernelI6reduceILN6hipcub20BlockReduceAlgorithmE1EEiLj256ELj16ELj100EEvPKT0_PS4_,comdat
	.protected	_Z6kernelI6reduceILN6hipcub20BlockReduceAlgorithmE1EEiLj256ELj16ELj100EEvPKT0_PS4_ ; -- Begin function _Z6kernelI6reduceILN6hipcub20BlockReduceAlgorithmE1EEiLj256ELj16ELj100EEvPKT0_PS4_
	.globl	_Z6kernelI6reduceILN6hipcub20BlockReduceAlgorithmE1EEiLj256ELj16ELj100EEvPKT0_PS4_
	.p2align	8
	.type	_Z6kernelI6reduceILN6hipcub20BlockReduceAlgorithmE1EEiLj256ELj16ELj100EEvPKT0_PS4_,@function
_Z6kernelI6reduceILN6hipcub20BlockReduceAlgorithmE1EEiLj256ELj16ELj100EEvPKT0_PS4_: ; @_Z6kernelI6reduceILN6hipcub20BlockReduceAlgorithmE1EEiLj256ELj16ELj100EEvPKT0_PS4_
; %bb.0:
	s_clause 0x1
	s_load_b32 s5, s[0:1], 0x1c
	s_load_b128 s[0:3], s[0:1], 0x0
	v_mov_b32_e32 v2, 0
	s_mov_b32 s4, s15
	s_waitcnt lgkmcnt(0)
	s_and_b32 s5, s5, 0xffff
	s_delay_alu instid0(SALU_CYCLE_1) | instskip(NEXT) | instid1(SALU_CYCLE_1)
	s_mul_i32 s5, s15, s5
	v_add_lshl_u32 v1, s5, v0, 4
	s_delay_alu instid0(VALU_DEP_1) | instskip(NEXT) | instid1(VALU_DEP_1)
	v_lshlrev_b64 v[1:2], 2, v[1:2]
	v_add_co_u32 v13, vcc_lo, s0, v1
	s_delay_alu instid0(VALU_DEP_2)
	v_add_co_ci_u32_e32 v14, vcc_lo, s1, v2, vcc_lo
	s_movk_i32 s0, 0x64
	s_clause 0x3
	global_load_b128 v[1:4], v[13:14], off
	global_load_b128 v[5:8], v[13:14], off offset:16
	global_load_b128 v[9:12], v[13:14], off offset:32
	;; [unrolled: 1-line block ×3, first 2 shown]
	s_waitcnt vmcnt(3)
	v_add3_u32 v2, v3, v2, v4
	s_waitcnt vmcnt(2)
	s_delay_alu instid0(VALU_DEP_1) | instskip(SKIP_1) | instid1(VALU_DEP_2)
	v_add3_u32 v2, v2, v5, v6
	v_mul_u32_u24_e32 v5, 28, v0
	v_add3_u32 v2, v2, v7, v8
	s_waitcnt vmcnt(1)
	s_delay_alu instid0(VALU_DEP_1) | instskip(NEXT) | instid1(VALU_DEP_1)
	v_add3_u32 v2, v2, v9, v10
	v_add3_u32 v3, v2, v11, v12
	v_lshlrev_b32_e32 v2, 2, v0
	s_waitcnt vmcnt(0)
	s_delay_alu instid0(VALU_DEP_2) | instskip(SKIP_1) | instid1(VALU_DEP_3)
	v_add3_u32 v4, v3, v13, v14
	v_mov_b32_e32 v3, 0x7c
	v_add_nc_u32_e32 v5, v2, v5
	s_delay_alu instid0(VALU_DEP_3)
	v_add3_u32 v4, v4, v15, v16
	s_set_inst_prefetch_distance 0x1
	.p2align	6
.LBB111_1:                              ; =>This Inner Loop Header: Depth=1
	s_waitcnt lgkmcnt(0)
	s_delay_alu instid0(VALU_DEP_1) | instskip(SKIP_1) | instid1(SALU_CYCLE_1)
	v_add_nc_u32_e32 v1, v4, v1
	s_add_i32 s0, s0, -1
	s_cmp_eq_u32 s0, 0
	ds_store_b32 v2, v1
	s_waitcnt lgkmcnt(0)
	s_barrier
	buffer_gl0_inv
	ds_load_2addr_b64 v[6:9], v5 offset0:2 offset1:3
	ds_load_2addr_b64 v[10:13], v5 offset1:1
	s_waitcnt lgkmcnt(1)
	v_add_nc_u32_e32 v1, v7, v9
	s_waitcnt lgkmcnt(0)
	v_add_nc_u32_e32 v7, v11, v13
	v_add_nc_u32_e32 v9, v10, v12
	s_delay_alu instid0(VALU_DEP_3) | instskip(NEXT) | instid1(VALU_DEP_1)
	v_add3_u32 v1, v6, v8, v1
	v_add3_u32 v1, v9, v7, v1
	s_delay_alu instid0(VALU_DEP_1) | instskip(NEXT) | instid1(VALU_DEP_1)
	v_mov_b32_dpp v6, v1 quad_perm:[1,0,3,2] row_mask:0xf bank_mask:0xf
	v_add_nc_u32_e32 v1, v6, v1
	s_delay_alu instid0(VALU_DEP_1) | instskip(NEXT) | instid1(VALU_DEP_1)
	v_mov_b32_dpp v6, v1 quad_perm:[2,3,0,1] row_mask:0xf bank_mask:0xf
	v_add_nc_u32_e32 v1, v1, v6
	s_delay_alu instid0(VALU_DEP_1) | instskip(NEXT) | instid1(VALU_DEP_1)
	v_mov_b32_dpp v6, v1 row_ror:4 row_mask:0xf bank_mask:0xf
	v_add_nc_u32_e32 v1, v1, v6
	s_delay_alu instid0(VALU_DEP_1) | instskip(NEXT) | instid1(VALU_DEP_1)
	v_mov_b32_dpp v6, v1 row_ror:8 row_mask:0xf bank_mask:0xf
	v_add_nc_u32_e32 v1, v1, v6
	ds_swizzle_b32 v6, v1 offset:swizzle(BROADCAST,32,15)
	s_waitcnt lgkmcnt(0)
	v_add_nc_u32_e32 v1, v1, v6
	ds_bpermute_b32 v1, v3, v1
	s_cbranch_scc0 .LBB111_1
; %bb.2:
	s_set_inst_prefetch_distance 0x2
	s_mov_b32 s5, 0
	s_mov_b32 s0, exec_lo
	v_cmpx_eq_u32_e32 0, v0
	s_cbranch_execz .LBB111_4
; %bb.3:
	s_lshl_b64 s[0:1], s[4:5], 2
	v_mov_b32_e32 v0, 0
	s_add_u32 s0, s2, s0
	s_addc_u32 s1, s3, s1
	s_waitcnt lgkmcnt(0)
	global_store_b32 v0, v1, s[0:1]
.LBB111_4:
	s_nop 0
	s_sendmsg sendmsg(MSG_DEALLOC_VGPRS)
	s_endpgm
	.section	.rodata,"a",@progbits
	.p2align	6, 0x0
	.amdhsa_kernel _Z6kernelI6reduceILN6hipcub20BlockReduceAlgorithmE1EEiLj256ELj16ELj100EEvPKT0_PS4_
		.amdhsa_group_segment_fixed_size 1024
		.amdhsa_private_segment_fixed_size 0
		.amdhsa_kernarg_size 272
		.amdhsa_user_sgpr_count 15
		.amdhsa_user_sgpr_dispatch_ptr 0
		.amdhsa_user_sgpr_queue_ptr 0
		.amdhsa_user_sgpr_kernarg_segment_ptr 1
		.amdhsa_user_sgpr_dispatch_id 0
		.amdhsa_user_sgpr_private_segment_size 0
		.amdhsa_wavefront_size32 1
		.amdhsa_uses_dynamic_stack 0
		.amdhsa_enable_private_segment 0
		.amdhsa_system_sgpr_workgroup_id_x 1
		.amdhsa_system_sgpr_workgroup_id_y 0
		.amdhsa_system_sgpr_workgroup_id_z 0
		.amdhsa_system_sgpr_workgroup_info 0
		.amdhsa_system_vgpr_workitem_id 0
		.amdhsa_next_free_vgpr 17
		.amdhsa_next_free_sgpr 16
		.amdhsa_reserve_vcc 1
		.amdhsa_float_round_mode_32 0
		.amdhsa_float_round_mode_16_64 0
		.amdhsa_float_denorm_mode_32 3
		.amdhsa_float_denorm_mode_16_64 3
		.amdhsa_dx10_clamp 1
		.amdhsa_ieee_mode 1
		.amdhsa_fp16_overflow 0
		.amdhsa_workgroup_processor_mode 1
		.amdhsa_memory_ordered 1
		.amdhsa_forward_progress 0
		.amdhsa_shared_vgpr_count 0
		.amdhsa_exception_fp_ieee_invalid_op 0
		.amdhsa_exception_fp_denorm_src 0
		.amdhsa_exception_fp_ieee_div_zero 0
		.amdhsa_exception_fp_ieee_overflow 0
		.amdhsa_exception_fp_ieee_underflow 0
		.amdhsa_exception_fp_ieee_inexact 0
		.amdhsa_exception_int_div_zero 0
	.end_amdhsa_kernel
	.section	.text._Z6kernelI6reduceILN6hipcub20BlockReduceAlgorithmE1EEiLj256ELj16ELj100EEvPKT0_PS4_,"axG",@progbits,_Z6kernelI6reduceILN6hipcub20BlockReduceAlgorithmE1EEiLj256ELj16ELj100EEvPKT0_PS4_,comdat
.Lfunc_end111:
	.size	_Z6kernelI6reduceILN6hipcub20BlockReduceAlgorithmE1EEiLj256ELj16ELj100EEvPKT0_PS4_, .Lfunc_end111-_Z6kernelI6reduceILN6hipcub20BlockReduceAlgorithmE1EEiLj256ELj16ELj100EEvPKT0_PS4_
                                        ; -- End function
	.section	.AMDGPU.csdata,"",@progbits
; Kernel info:
; codeLenInByte = 488
; NumSgprs: 18
; NumVgprs: 17
; ScratchSize: 0
; MemoryBound: 0
; FloatMode: 240
; IeeeMode: 1
; LDSByteSize: 1024 bytes/workgroup (compile time only)
; SGPRBlocks: 2
; VGPRBlocks: 2
; NumSGPRsForWavesPerEU: 18
; NumVGPRsForWavesPerEU: 17
; Occupancy: 16
; WaveLimiterHint : 0
; COMPUTE_PGM_RSRC2:SCRATCH_EN: 0
; COMPUTE_PGM_RSRC2:USER_SGPR: 15
; COMPUTE_PGM_RSRC2:TRAP_HANDLER: 0
; COMPUTE_PGM_RSRC2:TGID_X_EN: 1
; COMPUTE_PGM_RSRC2:TGID_Y_EN: 0
; COMPUTE_PGM_RSRC2:TGID_Z_EN: 0
; COMPUTE_PGM_RSRC2:TIDIG_COMP_CNT: 0
	.section	.text._Z6kernelI6reduceILN6hipcub20BlockReduceAlgorithmE1EEfLj256ELj1ELj100EEvPKT0_PS4_,"axG",@progbits,_Z6kernelI6reduceILN6hipcub20BlockReduceAlgorithmE1EEfLj256ELj1ELj100EEvPKT0_PS4_,comdat
	.protected	_Z6kernelI6reduceILN6hipcub20BlockReduceAlgorithmE1EEfLj256ELj1ELj100EEvPKT0_PS4_ ; -- Begin function _Z6kernelI6reduceILN6hipcub20BlockReduceAlgorithmE1EEfLj256ELj1ELj100EEvPKT0_PS4_
	.globl	_Z6kernelI6reduceILN6hipcub20BlockReduceAlgorithmE1EEfLj256ELj1ELj100EEvPKT0_PS4_
	.p2align	8
	.type	_Z6kernelI6reduceILN6hipcub20BlockReduceAlgorithmE1EEfLj256ELj1ELj100EEvPKT0_PS4_,@function
_Z6kernelI6reduceILN6hipcub20BlockReduceAlgorithmE1EEfLj256ELj1ELj100EEvPKT0_PS4_: ; @_Z6kernelI6reduceILN6hipcub20BlockReduceAlgorithmE1EEfLj256ELj1ELj100EEvPKT0_PS4_
; %bb.0:
	s_clause 0x1
	s_load_b32 s5, s[0:1], 0x1c
	s_load_b128 s[0:3], s[0:1], 0x0
	s_mov_b32 s4, s15
	v_mul_u32_u24_e32 v3, 28, v0
	s_waitcnt lgkmcnt(0)
	s_and_b32 s5, s5, 0xffff
	s_delay_alu instid0(SALU_CYCLE_1) | instskip(SKIP_1) | instid1(VALU_DEP_1)
	v_mad_u64_u32 v[1:2], null, s4, s5, v[0:1]
	v_mov_b32_e32 v2, 0
	v_lshlrev_b64 v[1:2], 2, v[1:2]
	s_delay_alu instid0(VALU_DEP_1) | instskip(NEXT) | instid1(VALU_DEP_2)
	v_add_co_u32 v1, vcc_lo, s0, v1
	v_add_co_ci_u32_e32 v2, vcc_lo, s1, v2, vcc_lo
	s_movk_i32 s0, 0x64
	global_load_b32 v4, v[1:2], off
	v_dual_mov_b32 v2, 0x7c :: v_dual_lshlrev_b32 v1, 2, v0
	s_delay_alu instid0(VALU_DEP_1)
	v_add_nc_u32_e32 v3, v1, v3
	s_set_inst_prefetch_distance 0x1
	.p2align	6
.LBB112_1:                              ; =>This Inner Loop Header: Depth=1
	s_waitcnt vmcnt(0) lgkmcnt(0)
	ds_store_b32 v1, v4
	s_waitcnt lgkmcnt(0)
	s_barrier
	buffer_gl0_inv
	ds_load_2addr_b64 v[4:7], v3 offset1:1
	ds_load_2addr_b64 v[8:11], v3 offset0:2 offset1:3
	s_add_i32 s0, s0, -1
	s_delay_alu instid0(SALU_CYCLE_1) | instskip(SKIP_2) | instid1(VALU_DEP_1)
	s_cmp_eq_u32 s0, 0
	s_waitcnt lgkmcnt(1)
	v_add_f32_e32 v4, v4, v5
	v_add_f32_e32 v4, v4, v6
	s_delay_alu instid0(VALU_DEP_1) | instskip(SKIP_1) | instid1(VALU_DEP_1)
	v_add_f32_e32 v4, v4, v7
	s_waitcnt lgkmcnt(0)
	v_add_f32_e32 v4, v4, v8
	s_delay_alu instid0(VALU_DEP_1) | instskip(NEXT) | instid1(VALU_DEP_1)
	v_add_f32_e32 v4, v4, v9
	v_add_f32_e32 v4, v4, v10
	s_delay_alu instid0(VALU_DEP_1) | instskip(NEXT) | instid1(VALU_DEP_1)
	v_add_f32_e32 v4, v4, v11
	v_mov_b32_dpp v5, v4 quad_perm:[1,0,3,2] row_mask:0xf bank_mask:0xf
	s_delay_alu instid0(VALU_DEP_1) | instskip(NEXT) | instid1(VALU_DEP_1)
	v_add_f32_e32 v4, v4, v5
	v_mov_b32_dpp v5, v4 quad_perm:[2,3,0,1] row_mask:0xf bank_mask:0xf
	s_delay_alu instid0(VALU_DEP_1) | instskip(NEXT) | instid1(VALU_DEP_1)
	v_add_f32_e32 v4, v4, v5
	v_mov_b32_dpp v5, v4 row_ror:4 row_mask:0xf bank_mask:0xf
	s_delay_alu instid0(VALU_DEP_1) | instskip(NEXT) | instid1(VALU_DEP_1)
	v_add_f32_e32 v4, v4, v5
	v_mov_b32_dpp v5, v4 row_ror:8 row_mask:0xf bank_mask:0xf
	s_delay_alu instid0(VALU_DEP_1)
	v_add_f32_e32 v4, v4, v5
	ds_swizzle_b32 v5, v4 offset:swizzle(BROADCAST,32,15)
	s_waitcnt lgkmcnt(0)
	v_add_f32_e32 v4, v4, v5
	ds_bpermute_b32 v4, v2, v4
	s_cbranch_scc0 .LBB112_1
; %bb.2:
	s_set_inst_prefetch_distance 0x2
	s_mov_b32 s5, 0
	s_mov_b32 s0, exec_lo
	v_cmpx_eq_u32_e32 0, v0
	s_cbranch_execz .LBB112_4
; %bb.3:
	s_lshl_b64 s[0:1], s[4:5], 2
	v_mov_b32_e32 v0, 0
	s_add_u32 s0, s2, s0
	s_addc_u32 s1, s3, s1
	s_waitcnt lgkmcnt(0)
	global_store_b32 v0, v4, s[0:1]
.LBB112_4:
	s_nop 0
	s_sendmsg sendmsg(MSG_DEALLOC_VGPRS)
	s_endpgm
	.section	.rodata,"a",@progbits
	.p2align	6, 0x0
	.amdhsa_kernel _Z6kernelI6reduceILN6hipcub20BlockReduceAlgorithmE1EEfLj256ELj1ELj100EEvPKT0_PS4_
		.amdhsa_group_segment_fixed_size 1024
		.amdhsa_private_segment_fixed_size 0
		.amdhsa_kernarg_size 272
		.amdhsa_user_sgpr_count 15
		.amdhsa_user_sgpr_dispatch_ptr 0
		.amdhsa_user_sgpr_queue_ptr 0
		.amdhsa_user_sgpr_kernarg_segment_ptr 1
		.amdhsa_user_sgpr_dispatch_id 0
		.amdhsa_user_sgpr_private_segment_size 0
		.amdhsa_wavefront_size32 1
		.amdhsa_uses_dynamic_stack 0
		.amdhsa_enable_private_segment 0
		.amdhsa_system_sgpr_workgroup_id_x 1
		.amdhsa_system_sgpr_workgroup_id_y 0
		.amdhsa_system_sgpr_workgroup_id_z 0
		.amdhsa_system_sgpr_workgroup_info 0
		.amdhsa_system_vgpr_workitem_id 0
		.amdhsa_next_free_vgpr 12
		.amdhsa_next_free_sgpr 16
		.amdhsa_reserve_vcc 1
		.amdhsa_float_round_mode_32 0
		.amdhsa_float_round_mode_16_64 0
		.amdhsa_float_denorm_mode_32 3
		.amdhsa_float_denorm_mode_16_64 3
		.amdhsa_dx10_clamp 1
		.amdhsa_ieee_mode 1
		.amdhsa_fp16_overflow 0
		.amdhsa_workgroup_processor_mode 1
		.amdhsa_memory_ordered 1
		.amdhsa_forward_progress 0
		.amdhsa_shared_vgpr_count 0
		.amdhsa_exception_fp_ieee_invalid_op 0
		.amdhsa_exception_fp_denorm_src 0
		.amdhsa_exception_fp_ieee_div_zero 0
		.amdhsa_exception_fp_ieee_overflow 0
		.amdhsa_exception_fp_ieee_underflow 0
		.amdhsa_exception_fp_ieee_inexact 0
		.amdhsa_exception_int_div_zero 0
	.end_amdhsa_kernel
	.section	.text._Z6kernelI6reduceILN6hipcub20BlockReduceAlgorithmE1EEfLj256ELj1ELj100EEvPKT0_PS4_,"axG",@progbits,_Z6kernelI6reduceILN6hipcub20BlockReduceAlgorithmE1EEfLj256ELj1ELj100EEvPKT0_PS4_,comdat
.Lfunc_end112:
	.size	_Z6kernelI6reduceILN6hipcub20BlockReduceAlgorithmE1EEfLj256ELj1ELj100EEvPKT0_PS4_, .Lfunc_end112-_Z6kernelI6reduceILN6hipcub20BlockReduceAlgorithmE1EEfLj256ELj1ELj100EEvPKT0_PS4_
                                        ; -- End function
	.section	.AMDGPU.csdata,"",@progbits
; Kernel info:
; codeLenInByte = 372
; NumSgprs: 18
; NumVgprs: 12
; ScratchSize: 0
; MemoryBound: 0
; FloatMode: 240
; IeeeMode: 1
; LDSByteSize: 1024 bytes/workgroup (compile time only)
; SGPRBlocks: 2
; VGPRBlocks: 1
; NumSGPRsForWavesPerEU: 18
; NumVGPRsForWavesPerEU: 12
; Occupancy: 16
; WaveLimiterHint : 0
; COMPUTE_PGM_RSRC2:SCRATCH_EN: 0
; COMPUTE_PGM_RSRC2:USER_SGPR: 15
; COMPUTE_PGM_RSRC2:TRAP_HANDLER: 0
; COMPUTE_PGM_RSRC2:TGID_X_EN: 1
; COMPUTE_PGM_RSRC2:TGID_Y_EN: 0
; COMPUTE_PGM_RSRC2:TGID_Z_EN: 0
; COMPUTE_PGM_RSRC2:TIDIG_COMP_CNT: 0
	.section	.text._Z6kernelI6reduceILN6hipcub20BlockReduceAlgorithmE1EEfLj256ELj2ELj100EEvPKT0_PS4_,"axG",@progbits,_Z6kernelI6reduceILN6hipcub20BlockReduceAlgorithmE1EEfLj256ELj2ELj100EEvPKT0_PS4_,comdat
	.protected	_Z6kernelI6reduceILN6hipcub20BlockReduceAlgorithmE1EEfLj256ELj2ELj100EEvPKT0_PS4_ ; -- Begin function _Z6kernelI6reduceILN6hipcub20BlockReduceAlgorithmE1EEfLj256ELj2ELj100EEvPKT0_PS4_
	.globl	_Z6kernelI6reduceILN6hipcub20BlockReduceAlgorithmE1EEfLj256ELj2ELj100EEvPKT0_PS4_
	.p2align	8
	.type	_Z6kernelI6reduceILN6hipcub20BlockReduceAlgorithmE1EEfLj256ELj2ELj100EEvPKT0_PS4_,@function
_Z6kernelI6reduceILN6hipcub20BlockReduceAlgorithmE1EEfLj256ELj2ELj100EEvPKT0_PS4_: ; @_Z6kernelI6reduceILN6hipcub20BlockReduceAlgorithmE1EEfLj256ELj2ELj100EEvPKT0_PS4_
; %bb.0:
	s_clause 0x1
	s_load_b32 s5, s[0:1], 0x1c
	s_load_b128 s[0:3], s[0:1], 0x0
	v_dual_mov_b32 v2, 0 :: v_dual_lshlrev_b32 v3, 2, v0
	v_mul_u32_u24_e32 v5, 28, v0
	v_mov_b32_e32 v4, 0x7c
	s_mov_b32 s4, s15
	s_delay_alu instid0(VALU_DEP_2) | instskip(SKIP_2) | instid1(SALU_CYCLE_1)
	v_add_nc_u32_e32 v5, v3, v5
	s_waitcnt lgkmcnt(0)
	s_and_b32 s5, s5, 0xffff
	s_mul_i32 s5, s15, s5
	s_delay_alu instid0(SALU_CYCLE_1) | instskip(NEXT) | instid1(VALU_DEP_1)
	v_add_lshl_u32 v1, s5, v0, 1
	v_lshlrev_b64 v[1:2], 2, v[1:2]
	s_delay_alu instid0(VALU_DEP_1) | instskip(NEXT) | instid1(VALU_DEP_2)
	v_add_co_u32 v1, vcc_lo, s0, v1
	v_add_co_ci_u32_e32 v2, vcc_lo, s1, v2, vcc_lo
	s_movk_i32 s0, 0x64
	global_load_b64 v[1:2], v[1:2], off
	s_set_inst_prefetch_distance 0x1
	.p2align	6
.LBB113_1:                              ; =>This Inner Loop Header: Depth=1
	s_waitcnt vmcnt(0) lgkmcnt(0)
	v_add_f32_e32 v1, v1, v2
	s_add_i32 s0, s0, -1
	s_delay_alu instid0(SALU_CYCLE_1)
	s_cmp_eq_u32 s0, 0
	ds_store_b32 v3, v1
	s_waitcnt lgkmcnt(0)
	s_barrier
	buffer_gl0_inv
	ds_load_2addr_b64 v[6:9], v5 offset1:1
	ds_load_2addr_b64 v[10:13], v5 offset0:2 offset1:3
	s_waitcnt lgkmcnt(1)
	v_add_f32_e32 v1, v6, v7
	s_delay_alu instid0(VALU_DEP_1) | instskip(NEXT) | instid1(VALU_DEP_1)
	v_add_f32_e32 v1, v1, v8
	v_add_f32_e32 v1, v1, v9
	s_waitcnt lgkmcnt(0)
	s_delay_alu instid0(VALU_DEP_1) | instskip(NEXT) | instid1(VALU_DEP_1)
	v_add_f32_e32 v1, v1, v10
	v_add_f32_e32 v1, v1, v11
	s_delay_alu instid0(VALU_DEP_1) | instskip(NEXT) | instid1(VALU_DEP_1)
	v_add_f32_e32 v1, v1, v12
	v_add_f32_e32 v1, v1, v13
	s_delay_alu instid0(VALU_DEP_1) | instskip(NEXT) | instid1(VALU_DEP_1)
	v_mov_b32_dpp v6, v1 quad_perm:[1,0,3,2] row_mask:0xf bank_mask:0xf
	v_add_f32_e32 v1, v1, v6
	s_delay_alu instid0(VALU_DEP_1) | instskip(NEXT) | instid1(VALU_DEP_1)
	v_mov_b32_dpp v6, v1 quad_perm:[2,3,0,1] row_mask:0xf bank_mask:0xf
	v_add_f32_e32 v1, v1, v6
	s_delay_alu instid0(VALU_DEP_1) | instskip(NEXT) | instid1(VALU_DEP_1)
	v_mov_b32_dpp v6, v1 row_ror:4 row_mask:0xf bank_mask:0xf
	v_add_f32_e32 v1, v1, v6
	s_delay_alu instid0(VALU_DEP_1) | instskip(NEXT) | instid1(VALU_DEP_1)
	v_mov_b32_dpp v6, v1 row_ror:8 row_mask:0xf bank_mask:0xf
	v_add_f32_e32 v1, v1, v6
	ds_swizzle_b32 v6, v1 offset:swizzle(BROADCAST,32,15)
	s_waitcnt lgkmcnt(0)
	v_add_f32_e32 v1, v1, v6
	ds_bpermute_b32 v1, v4, v1
	s_cbranch_scc0 .LBB113_1
; %bb.2:
	s_set_inst_prefetch_distance 0x2
	s_mov_b32 s5, 0
	s_mov_b32 s0, exec_lo
	v_cmpx_eq_u32_e32 0, v0
	s_cbranch_execz .LBB113_4
; %bb.3:
	s_lshl_b64 s[0:1], s[4:5], 2
	v_mov_b32_e32 v0, 0
	s_add_u32 s0, s2, s0
	s_addc_u32 s1, s3, s1
	s_waitcnt lgkmcnt(0)
	global_store_b32 v0, v1, s[0:1]
.LBB113_4:
	s_nop 0
	s_sendmsg sendmsg(MSG_DEALLOC_VGPRS)
	s_endpgm
	.section	.rodata,"a",@progbits
	.p2align	6, 0x0
	.amdhsa_kernel _Z6kernelI6reduceILN6hipcub20BlockReduceAlgorithmE1EEfLj256ELj2ELj100EEvPKT0_PS4_
		.amdhsa_group_segment_fixed_size 1024
		.amdhsa_private_segment_fixed_size 0
		.amdhsa_kernarg_size 272
		.amdhsa_user_sgpr_count 15
		.amdhsa_user_sgpr_dispatch_ptr 0
		.amdhsa_user_sgpr_queue_ptr 0
		.amdhsa_user_sgpr_kernarg_segment_ptr 1
		.amdhsa_user_sgpr_dispatch_id 0
		.amdhsa_user_sgpr_private_segment_size 0
		.amdhsa_wavefront_size32 1
		.amdhsa_uses_dynamic_stack 0
		.amdhsa_enable_private_segment 0
		.amdhsa_system_sgpr_workgroup_id_x 1
		.amdhsa_system_sgpr_workgroup_id_y 0
		.amdhsa_system_sgpr_workgroup_id_z 0
		.amdhsa_system_sgpr_workgroup_info 0
		.amdhsa_system_vgpr_workitem_id 0
		.amdhsa_next_free_vgpr 14
		.amdhsa_next_free_sgpr 16
		.amdhsa_reserve_vcc 1
		.amdhsa_float_round_mode_32 0
		.amdhsa_float_round_mode_16_64 0
		.amdhsa_float_denorm_mode_32 3
		.amdhsa_float_denorm_mode_16_64 3
		.amdhsa_dx10_clamp 1
		.amdhsa_ieee_mode 1
		.amdhsa_fp16_overflow 0
		.amdhsa_workgroup_processor_mode 1
		.amdhsa_memory_ordered 1
		.amdhsa_forward_progress 0
		.amdhsa_shared_vgpr_count 0
		.amdhsa_exception_fp_ieee_invalid_op 0
		.amdhsa_exception_fp_denorm_src 0
		.amdhsa_exception_fp_ieee_div_zero 0
		.amdhsa_exception_fp_ieee_overflow 0
		.amdhsa_exception_fp_ieee_underflow 0
		.amdhsa_exception_fp_ieee_inexact 0
		.amdhsa_exception_int_div_zero 0
	.end_amdhsa_kernel
	.section	.text._Z6kernelI6reduceILN6hipcub20BlockReduceAlgorithmE1EEfLj256ELj2ELj100EEvPKT0_PS4_,"axG",@progbits,_Z6kernelI6reduceILN6hipcub20BlockReduceAlgorithmE1EEfLj256ELj2ELj100EEvPKT0_PS4_,comdat
.Lfunc_end113:
	.size	_Z6kernelI6reduceILN6hipcub20BlockReduceAlgorithmE1EEfLj256ELj2ELj100EEvPKT0_PS4_, .Lfunc_end113-_Z6kernelI6reduceILN6hipcub20BlockReduceAlgorithmE1EEfLj256ELj2ELj100EEvPKT0_PS4_
                                        ; -- End function
	.section	.AMDGPU.csdata,"",@progbits
; Kernel info:
; codeLenInByte = 380
; NumSgprs: 18
; NumVgprs: 14
; ScratchSize: 0
; MemoryBound: 0
; FloatMode: 240
; IeeeMode: 1
; LDSByteSize: 1024 bytes/workgroup (compile time only)
; SGPRBlocks: 2
; VGPRBlocks: 1
; NumSGPRsForWavesPerEU: 18
; NumVGPRsForWavesPerEU: 14
; Occupancy: 16
; WaveLimiterHint : 0
; COMPUTE_PGM_RSRC2:SCRATCH_EN: 0
; COMPUTE_PGM_RSRC2:USER_SGPR: 15
; COMPUTE_PGM_RSRC2:TRAP_HANDLER: 0
; COMPUTE_PGM_RSRC2:TGID_X_EN: 1
; COMPUTE_PGM_RSRC2:TGID_Y_EN: 0
; COMPUTE_PGM_RSRC2:TGID_Z_EN: 0
; COMPUTE_PGM_RSRC2:TIDIG_COMP_CNT: 0
	.section	.text._Z6kernelI6reduceILN6hipcub20BlockReduceAlgorithmE1EEfLj256ELj3ELj100EEvPKT0_PS4_,"axG",@progbits,_Z6kernelI6reduceILN6hipcub20BlockReduceAlgorithmE1EEfLj256ELj3ELj100EEvPKT0_PS4_,comdat
	.protected	_Z6kernelI6reduceILN6hipcub20BlockReduceAlgorithmE1EEfLj256ELj3ELj100EEvPKT0_PS4_ ; -- Begin function _Z6kernelI6reduceILN6hipcub20BlockReduceAlgorithmE1EEfLj256ELj3ELj100EEvPKT0_PS4_
	.globl	_Z6kernelI6reduceILN6hipcub20BlockReduceAlgorithmE1EEfLj256ELj3ELj100EEvPKT0_PS4_
	.p2align	8
	.type	_Z6kernelI6reduceILN6hipcub20BlockReduceAlgorithmE1EEfLj256ELj3ELj100EEvPKT0_PS4_,@function
_Z6kernelI6reduceILN6hipcub20BlockReduceAlgorithmE1EEfLj256ELj3ELj100EEvPKT0_PS4_: ; @_Z6kernelI6reduceILN6hipcub20BlockReduceAlgorithmE1EEfLj256ELj3ELj100EEvPKT0_PS4_
; %bb.0:
	s_load_b32 s2, s[0:1], 0x1c
	s_mov_b32 s4, s15
	s_waitcnt lgkmcnt(0)
	s_and_b32 s2, s2, 0xffff
	s_delay_alu instid0(SALU_CYCLE_1) | instskip(SKIP_1) | instid1(VALU_DEP_1)
	v_mad_u64_u32 v[1:2], null, s4, s2, v[0:1]
	s_load_b128 s[0:3], s[0:1], 0x0
	v_lshl_add_u32 v1, v1, 1, v1
	s_delay_alu instid0(VALU_DEP_1) | instskip(NEXT) | instid1(VALU_DEP_1)
	v_dual_mov_b32 v2, 0 :: v_dual_add_nc_u32 v3, 1, v1
	v_mov_b32_e32 v4, v2
	v_lshlrev_b64 v[5:6], 2, v[1:2]
	v_add_nc_u32_e32 v1, 2, v1
	s_delay_alu instid0(VALU_DEP_3) | instskip(NEXT) | instid1(VALU_DEP_2)
	v_lshlrev_b64 v[3:4], 2, v[3:4]
	v_lshlrev_b64 v[1:2], 2, v[1:2]
	s_waitcnt lgkmcnt(0)
	s_delay_alu instid0(VALU_DEP_4) | instskip(SKIP_1) | instid1(VALU_DEP_4)
	v_add_co_u32 v5, vcc_lo, s0, v5
	v_add_co_ci_u32_e32 v6, vcc_lo, s1, v6, vcc_lo
	v_add_co_u32 v7, vcc_lo, s0, v3
	v_add_co_ci_u32_e32 v8, vcc_lo, s1, v4, vcc_lo
	;; [unrolled: 2-line block ×3, first 2 shown]
	s_clause 0x2
	global_load_b32 v4, v[5:6], off
	global_load_b32 v1, v[7:8], off
	;; [unrolled: 1-line block ×3, first 2 shown]
	v_lshlrev_b32_e32 v3, 2, v0
	v_mul_u32_u24_e32 v6, 28, v0
	v_mov_b32_e32 v5, 0x7c
	s_movk_i32 s0, 0x64
	s_delay_alu instid0(VALU_DEP_2)
	v_add_nc_u32_e32 v6, v3, v6
	s_set_inst_prefetch_distance 0x1
	.p2align	6
.LBB114_1:                              ; =>This Inner Loop Header: Depth=1
	s_waitcnt vmcnt(1) lgkmcnt(0)
	v_add_f32_e32 v4, v4, v1
	s_add_i32 s0, s0, -1
	s_delay_alu instid0(SALU_CYCLE_1) | instskip(SKIP_1) | instid1(VALU_DEP_1)
	s_cmp_eq_u32 s0, 0
	s_waitcnt vmcnt(0)
	v_add_f32_e32 v4, v2, v4
	ds_store_b32 v3, v4
	s_waitcnt lgkmcnt(0)
	s_barrier
	buffer_gl0_inv
	ds_load_2addr_b64 v[7:10], v6 offset1:1
	ds_load_2addr_b64 v[11:14], v6 offset0:2 offset1:3
	s_waitcnt lgkmcnt(1)
	v_add_f32_e32 v4, v7, v8
	s_delay_alu instid0(VALU_DEP_1) | instskip(NEXT) | instid1(VALU_DEP_1)
	v_add_f32_e32 v4, v4, v9
	v_add_f32_e32 v4, v4, v10
	s_waitcnt lgkmcnt(0)
	s_delay_alu instid0(VALU_DEP_1) | instskip(NEXT) | instid1(VALU_DEP_1)
	v_add_f32_e32 v4, v4, v11
	v_add_f32_e32 v4, v4, v12
	s_delay_alu instid0(VALU_DEP_1) | instskip(NEXT) | instid1(VALU_DEP_1)
	v_add_f32_e32 v4, v4, v13
	v_add_f32_e32 v4, v4, v14
	s_delay_alu instid0(VALU_DEP_1) | instskip(NEXT) | instid1(VALU_DEP_1)
	v_mov_b32_dpp v7, v4 quad_perm:[1,0,3,2] row_mask:0xf bank_mask:0xf
	v_add_f32_e32 v4, v4, v7
	s_delay_alu instid0(VALU_DEP_1) | instskip(NEXT) | instid1(VALU_DEP_1)
	v_mov_b32_dpp v7, v4 quad_perm:[2,3,0,1] row_mask:0xf bank_mask:0xf
	v_add_f32_e32 v4, v4, v7
	s_delay_alu instid0(VALU_DEP_1) | instskip(NEXT) | instid1(VALU_DEP_1)
	v_mov_b32_dpp v7, v4 row_ror:4 row_mask:0xf bank_mask:0xf
	v_add_f32_e32 v4, v4, v7
	s_delay_alu instid0(VALU_DEP_1) | instskip(NEXT) | instid1(VALU_DEP_1)
	v_mov_b32_dpp v7, v4 row_ror:8 row_mask:0xf bank_mask:0xf
	v_add_f32_e32 v4, v4, v7
	ds_swizzle_b32 v7, v4 offset:swizzle(BROADCAST,32,15)
	s_waitcnt lgkmcnt(0)
	v_add_f32_e32 v4, v4, v7
	ds_bpermute_b32 v4, v5, v4
	s_cbranch_scc0 .LBB114_1
; %bb.2:
	s_set_inst_prefetch_distance 0x2
	s_mov_b32 s5, 0
	s_mov_b32 s0, exec_lo
	v_cmpx_eq_u32_e32 0, v0
	s_cbranch_execz .LBB114_4
; %bb.3:
	s_lshl_b64 s[0:1], s[4:5], 2
	v_mov_b32_e32 v0, 0
	s_add_u32 s0, s2, s0
	s_addc_u32 s1, s3, s1
	s_waitcnt lgkmcnt(0)
	global_store_b32 v0, v4, s[0:1]
.LBB114_4:
	s_nop 0
	s_sendmsg sendmsg(MSG_DEALLOC_VGPRS)
	s_endpgm
	.section	.rodata,"a",@progbits
	.p2align	6, 0x0
	.amdhsa_kernel _Z6kernelI6reduceILN6hipcub20BlockReduceAlgorithmE1EEfLj256ELj3ELj100EEvPKT0_PS4_
		.amdhsa_group_segment_fixed_size 1024
		.amdhsa_private_segment_fixed_size 0
		.amdhsa_kernarg_size 272
		.amdhsa_user_sgpr_count 15
		.amdhsa_user_sgpr_dispatch_ptr 0
		.amdhsa_user_sgpr_queue_ptr 0
		.amdhsa_user_sgpr_kernarg_segment_ptr 1
		.amdhsa_user_sgpr_dispatch_id 0
		.amdhsa_user_sgpr_private_segment_size 0
		.amdhsa_wavefront_size32 1
		.amdhsa_uses_dynamic_stack 0
		.amdhsa_enable_private_segment 0
		.amdhsa_system_sgpr_workgroup_id_x 1
		.amdhsa_system_sgpr_workgroup_id_y 0
		.amdhsa_system_sgpr_workgroup_id_z 0
		.amdhsa_system_sgpr_workgroup_info 0
		.amdhsa_system_vgpr_workitem_id 0
		.amdhsa_next_free_vgpr 15
		.amdhsa_next_free_sgpr 16
		.amdhsa_reserve_vcc 1
		.amdhsa_float_round_mode_32 0
		.amdhsa_float_round_mode_16_64 0
		.amdhsa_float_denorm_mode_32 3
		.amdhsa_float_denorm_mode_16_64 3
		.amdhsa_dx10_clamp 1
		.amdhsa_ieee_mode 1
		.amdhsa_fp16_overflow 0
		.amdhsa_workgroup_processor_mode 1
		.amdhsa_memory_ordered 1
		.amdhsa_forward_progress 0
		.amdhsa_shared_vgpr_count 0
		.amdhsa_exception_fp_ieee_invalid_op 0
		.amdhsa_exception_fp_denorm_src 0
		.amdhsa_exception_fp_ieee_div_zero 0
		.amdhsa_exception_fp_ieee_overflow 0
		.amdhsa_exception_fp_ieee_underflow 0
		.amdhsa_exception_fp_ieee_inexact 0
		.amdhsa_exception_int_div_zero 0
	.end_amdhsa_kernel
	.section	.text._Z6kernelI6reduceILN6hipcub20BlockReduceAlgorithmE1EEfLj256ELj3ELj100EEvPKT0_PS4_,"axG",@progbits,_Z6kernelI6reduceILN6hipcub20BlockReduceAlgorithmE1EEfLj256ELj3ELj100EEvPKT0_PS4_,comdat
.Lfunc_end114:
	.size	_Z6kernelI6reduceILN6hipcub20BlockReduceAlgorithmE1EEfLj256ELj3ELj100EEvPKT0_PS4_, .Lfunc_end114-_Z6kernelI6reduceILN6hipcub20BlockReduceAlgorithmE1EEfLj256ELj3ELj100EEvPKT0_PS4_
                                        ; -- End function
	.section	.AMDGPU.csdata,"",@progbits
; Kernel info:
; codeLenInByte = 472
; NumSgprs: 18
; NumVgprs: 15
; ScratchSize: 0
; MemoryBound: 0
; FloatMode: 240
; IeeeMode: 1
; LDSByteSize: 1024 bytes/workgroup (compile time only)
; SGPRBlocks: 2
; VGPRBlocks: 1
; NumSGPRsForWavesPerEU: 18
; NumVGPRsForWavesPerEU: 15
; Occupancy: 16
; WaveLimiterHint : 0
; COMPUTE_PGM_RSRC2:SCRATCH_EN: 0
; COMPUTE_PGM_RSRC2:USER_SGPR: 15
; COMPUTE_PGM_RSRC2:TRAP_HANDLER: 0
; COMPUTE_PGM_RSRC2:TGID_X_EN: 1
; COMPUTE_PGM_RSRC2:TGID_Y_EN: 0
; COMPUTE_PGM_RSRC2:TGID_Z_EN: 0
; COMPUTE_PGM_RSRC2:TIDIG_COMP_CNT: 0
	.section	.text._Z6kernelI6reduceILN6hipcub20BlockReduceAlgorithmE1EEfLj256ELj4ELj100EEvPKT0_PS4_,"axG",@progbits,_Z6kernelI6reduceILN6hipcub20BlockReduceAlgorithmE1EEfLj256ELj4ELj100EEvPKT0_PS4_,comdat
	.protected	_Z6kernelI6reduceILN6hipcub20BlockReduceAlgorithmE1EEfLj256ELj4ELj100EEvPKT0_PS4_ ; -- Begin function _Z6kernelI6reduceILN6hipcub20BlockReduceAlgorithmE1EEfLj256ELj4ELj100EEvPKT0_PS4_
	.globl	_Z6kernelI6reduceILN6hipcub20BlockReduceAlgorithmE1EEfLj256ELj4ELj100EEvPKT0_PS4_
	.p2align	8
	.type	_Z6kernelI6reduceILN6hipcub20BlockReduceAlgorithmE1EEfLj256ELj4ELj100EEvPKT0_PS4_,@function
_Z6kernelI6reduceILN6hipcub20BlockReduceAlgorithmE1EEfLj256ELj4ELj100EEvPKT0_PS4_: ; @_Z6kernelI6reduceILN6hipcub20BlockReduceAlgorithmE1EEfLj256ELj4ELj100EEvPKT0_PS4_
; %bb.0:
	s_clause 0x1
	s_load_b32 s5, s[0:1], 0x1c
	s_load_b128 s[0:3], s[0:1], 0x0
	v_dual_mov_b32 v2, 0 :: v_dual_lshlrev_b32 v5, 2, v0
	v_mul_u32_u24_e32 v7, 28, v0
	v_mov_b32_e32 v6, 0x7c
	s_mov_b32 s4, s15
	s_delay_alu instid0(VALU_DEP_2) | instskip(SKIP_2) | instid1(SALU_CYCLE_1)
	v_add_nc_u32_e32 v7, v5, v7
	s_waitcnt lgkmcnt(0)
	s_and_b32 s5, s5, 0xffff
	s_mul_i32 s5, s15, s5
	s_delay_alu instid0(SALU_CYCLE_1) | instskip(NEXT) | instid1(VALU_DEP_1)
	v_add_lshl_u32 v1, s5, v0, 2
	v_lshlrev_b64 v[1:2], 2, v[1:2]
	s_delay_alu instid0(VALU_DEP_1) | instskip(NEXT) | instid1(VALU_DEP_2)
	v_add_co_u32 v1, vcc_lo, s0, v1
	v_add_co_ci_u32_e32 v2, vcc_lo, s1, v2, vcc_lo
	s_movk_i32 s0, 0x64
	global_load_b128 v[1:4], v[1:2], off
	s_set_inst_prefetch_distance 0x1
	.p2align	6
.LBB115_1:                              ; =>This Inner Loop Header: Depth=1
	s_waitcnt vmcnt(0) lgkmcnt(0)
	v_add_f32_e32 v1, v1, v2
	s_add_i32 s0, s0, -1
	s_delay_alu instid0(SALU_CYCLE_1) | instskip(NEXT) | instid1(VALU_DEP_1)
	s_cmp_eq_u32 s0, 0
	v_add_f32_e32 v1, v3, v1
	s_delay_alu instid0(VALU_DEP_1)
	v_add_f32_e32 v1, v4, v1
	ds_store_b32 v5, v1
	s_waitcnt lgkmcnt(0)
	s_barrier
	buffer_gl0_inv
	ds_load_2addr_b64 v[8:11], v7 offset1:1
	ds_load_2addr_b64 v[12:15], v7 offset0:2 offset1:3
	s_waitcnt lgkmcnt(1)
	v_add_f32_e32 v1, v8, v9
	s_delay_alu instid0(VALU_DEP_1) | instskip(NEXT) | instid1(VALU_DEP_1)
	v_add_f32_e32 v1, v1, v10
	v_add_f32_e32 v1, v1, v11
	s_waitcnt lgkmcnt(0)
	s_delay_alu instid0(VALU_DEP_1) | instskip(NEXT) | instid1(VALU_DEP_1)
	v_add_f32_e32 v1, v1, v12
	v_add_f32_e32 v1, v1, v13
	s_delay_alu instid0(VALU_DEP_1) | instskip(NEXT) | instid1(VALU_DEP_1)
	v_add_f32_e32 v1, v1, v14
	v_add_f32_e32 v1, v1, v15
	s_delay_alu instid0(VALU_DEP_1) | instskip(NEXT) | instid1(VALU_DEP_1)
	v_mov_b32_dpp v8, v1 quad_perm:[1,0,3,2] row_mask:0xf bank_mask:0xf
	v_add_f32_e32 v1, v1, v8
	s_delay_alu instid0(VALU_DEP_1) | instskip(NEXT) | instid1(VALU_DEP_1)
	v_mov_b32_dpp v8, v1 quad_perm:[2,3,0,1] row_mask:0xf bank_mask:0xf
	v_add_f32_e32 v1, v1, v8
	s_delay_alu instid0(VALU_DEP_1) | instskip(NEXT) | instid1(VALU_DEP_1)
	v_mov_b32_dpp v8, v1 row_ror:4 row_mask:0xf bank_mask:0xf
	v_add_f32_e32 v1, v1, v8
	s_delay_alu instid0(VALU_DEP_1) | instskip(NEXT) | instid1(VALU_DEP_1)
	v_mov_b32_dpp v8, v1 row_ror:8 row_mask:0xf bank_mask:0xf
	v_add_f32_e32 v1, v1, v8
	ds_swizzle_b32 v8, v1 offset:swizzle(BROADCAST,32,15)
	s_waitcnt lgkmcnt(0)
	v_add_f32_e32 v1, v1, v8
	ds_bpermute_b32 v1, v6, v1
	s_cbranch_scc0 .LBB115_1
; %bb.2:
	s_set_inst_prefetch_distance 0x2
	s_mov_b32 s5, 0
	s_mov_b32 s0, exec_lo
	v_cmpx_eq_u32_e32 0, v0
	s_cbranch_execz .LBB115_4
; %bb.3:
	s_lshl_b64 s[0:1], s[4:5], 2
	v_mov_b32_e32 v0, 0
	s_add_u32 s0, s2, s0
	s_addc_u32 s1, s3, s1
	s_waitcnt lgkmcnt(0)
	global_store_b32 v0, v1, s[0:1]
.LBB115_4:
	s_nop 0
	s_sendmsg sendmsg(MSG_DEALLOC_VGPRS)
	s_endpgm
	.section	.rodata,"a",@progbits
	.p2align	6, 0x0
	.amdhsa_kernel _Z6kernelI6reduceILN6hipcub20BlockReduceAlgorithmE1EEfLj256ELj4ELj100EEvPKT0_PS4_
		.amdhsa_group_segment_fixed_size 1024
		.amdhsa_private_segment_fixed_size 0
		.amdhsa_kernarg_size 272
		.amdhsa_user_sgpr_count 15
		.amdhsa_user_sgpr_dispatch_ptr 0
		.amdhsa_user_sgpr_queue_ptr 0
		.amdhsa_user_sgpr_kernarg_segment_ptr 1
		.amdhsa_user_sgpr_dispatch_id 0
		.amdhsa_user_sgpr_private_segment_size 0
		.amdhsa_wavefront_size32 1
		.amdhsa_uses_dynamic_stack 0
		.amdhsa_enable_private_segment 0
		.amdhsa_system_sgpr_workgroup_id_x 1
		.amdhsa_system_sgpr_workgroup_id_y 0
		.amdhsa_system_sgpr_workgroup_id_z 0
		.amdhsa_system_sgpr_workgroup_info 0
		.amdhsa_system_vgpr_workitem_id 0
		.amdhsa_next_free_vgpr 16
		.amdhsa_next_free_sgpr 16
		.amdhsa_reserve_vcc 1
		.amdhsa_float_round_mode_32 0
		.amdhsa_float_round_mode_16_64 0
		.amdhsa_float_denorm_mode_32 3
		.amdhsa_float_denorm_mode_16_64 3
		.amdhsa_dx10_clamp 1
		.amdhsa_ieee_mode 1
		.amdhsa_fp16_overflow 0
		.amdhsa_workgroup_processor_mode 1
		.amdhsa_memory_ordered 1
		.amdhsa_forward_progress 0
		.amdhsa_shared_vgpr_count 0
		.amdhsa_exception_fp_ieee_invalid_op 0
		.amdhsa_exception_fp_denorm_src 0
		.amdhsa_exception_fp_ieee_div_zero 0
		.amdhsa_exception_fp_ieee_overflow 0
		.amdhsa_exception_fp_ieee_underflow 0
		.amdhsa_exception_fp_ieee_inexact 0
		.amdhsa_exception_int_div_zero 0
	.end_amdhsa_kernel
	.section	.text._Z6kernelI6reduceILN6hipcub20BlockReduceAlgorithmE1EEfLj256ELj4ELj100EEvPKT0_PS4_,"axG",@progbits,_Z6kernelI6reduceILN6hipcub20BlockReduceAlgorithmE1EEfLj256ELj4ELj100EEvPKT0_PS4_,comdat
.Lfunc_end115:
	.size	_Z6kernelI6reduceILN6hipcub20BlockReduceAlgorithmE1EEfLj256ELj4ELj100EEvPKT0_PS4_, .Lfunc_end115-_Z6kernelI6reduceILN6hipcub20BlockReduceAlgorithmE1EEfLj256ELj4ELj100EEvPKT0_PS4_
                                        ; -- End function
	.section	.AMDGPU.csdata,"",@progbits
; Kernel info:
; codeLenInByte = 392
; NumSgprs: 18
; NumVgprs: 16
; ScratchSize: 0
; MemoryBound: 0
; FloatMode: 240
; IeeeMode: 1
; LDSByteSize: 1024 bytes/workgroup (compile time only)
; SGPRBlocks: 2
; VGPRBlocks: 1
; NumSGPRsForWavesPerEU: 18
; NumVGPRsForWavesPerEU: 16
; Occupancy: 16
; WaveLimiterHint : 0
; COMPUTE_PGM_RSRC2:SCRATCH_EN: 0
; COMPUTE_PGM_RSRC2:USER_SGPR: 15
; COMPUTE_PGM_RSRC2:TRAP_HANDLER: 0
; COMPUTE_PGM_RSRC2:TGID_X_EN: 1
; COMPUTE_PGM_RSRC2:TGID_Y_EN: 0
; COMPUTE_PGM_RSRC2:TGID_Z_EN: 0
; COMPUTE_PGM_RSRC2:TIDIG_COMP_CNT: 0
	.section	.text._Z6kernelI6reduceILN6hipcub20BlockReduceAlgorithmE1EEfLj256ELj8ELj100EEvPKT0_PS4_,"axG",@progbits,_Z6kernelI6reduceILN6hipcub20BlockReduceAlgorithmE1EEfLj256ELj8ELj100EEvPKT0_PS4_,comdat
	.protected	_Z6kernelI6reduceILN6hipcub20BlockReduceAlgorithmE1EEfLj256ELj8ELj100EEvPKT0_PS4_ ; -- Begin function _Z6kernelI6reduceILN6hipcub20BlockReduceAlgorithmE1EEfLj256ELj8ELj100EEvPKT0_PS4_
	.globl	_Z6kernelI6reduceILN6hipcub20BlockReduceAlgorithmE1EEfLj256ELj8ELj100EEvPKT0_PS4_
	.p2align	8
	.type	_Z6kernelI6reduceILN6hipcub20BlockReduceAlgorithmE1EEfLj256ELj8ELj100EEvPKT0_PS4_,@function
_Z6kernelI6reduceILN6hipcub20BlockReduceAlgorithmE1EEfLj256ELj8ELj100EEvPKT0_PS4_: ; @_Z6kernelI6reduceILN6hipcub20BlockReduceAlgorithmE1EEfLj256ELj8ELj100EEvPKT0_PS4_
; %bb.0:
	s_clause 0x1
	s_load_b32 s5, s[0:1], 0x1c
	s_load_b128 s[0:3], s[0:1], 0x0
	v_dual_mov_b32 v2, 0 :: v_dual_lshlrev_b32 v9, 2, v0
	v_mul_u32_u24_e32 v11, 28, v0
	v_mov_b32_e32 v10, 0x7c
	s_mov_b32 s4, s15
	s_delay_alu instid0(VALU_DEP_2) | instskip(SKIP_2) | instid1(SALU_CYCLE_1)
	v_add_nc_u32_e32 v11, v9, v11
	s_waitcnt lgkmcnt(0)
	s_and_b32 s5, s5, 0xffff
	s_mul_i32 s5, s15, s5
	s_delay_alu instid0(SALU_CYCLE_1) | instskip(NEXT) | instid1(VALU_DEP_1)
	v_add_lshl_u32 v1, s5, v0, 3
	v_lshlrev_b64 v[1:2], 2, v[1:2]
	s_delay_alu instid0(VALU_DEP_1) | instskip(NEXT) | instid1(VALU_DEP_2)
	v_add_co_u32 v5, vcc_lo, s0, v1
	v_add_co_ci_u32_e32 v6, vcc_lo, s1, v2, vcc_lo
	s_movk_i32 s0, 0x64
	s_clause 0x1
	global_load_b128 v[1:4], v[5:6], off
	global_load_b128 v[5:8], v[5:6], off offset:16
	s_set_inst_prefetch_distance 0x1
	.p2align	6
.LBB116_1:                              ; =>This Inner Loop Header: Depth=1
	s_waitcnt vmcnt(1) lgkmcnt(0)
	v_add_f32_e32 v1, v1, v2
	s_add_i32 s0, s0, -1
	s_delay_alu instid0(SALU_CYCLE_1) | instskip(NEXT) | instid1(VALU_DEP_1)
	s_cmp_eq_u32 s0, 0
	v_add_f32_e32 v1, v3, v1
	s_delay_alu instid0(VALU_DEP_1) | instskip(SKIP_1) | instid1(VALU_DEP_1)
	v_add_f32_e32 v1, v4, v1
	s_waitcnt vmcnt(0)
	v_add_f32_e32 v1, v5, v1
	s_delay_alu instid0(VALU_DEP_1) | instskip(NEXT) | instid1(VALU_DEP_1)
	v_add_f32_e32 v1, v6, v1
	v_add_f32_e32 v1, v7, v1
	s_delay_alu instid0(VALU_DEP_1)
	v_add_f32_e32 v1, v8, v1
	ds_store_b32 v9, v1
	s_waitcnt lgkmcnt(0)
	s_barrier
	buffer_gl0_inv
	ds_load_2addr_b64 v[12:15], v11 offset1:1
	ds_load_2addr_b64 v[16:19], v11 offset0:2 offset1:3
	s_waitcnt lgkmcnt(1)
	v_add_f32_e32 v1, v12, v13
	s_delay_alu instid0(VALU_DEP_1) | instskip(NEXT) | instid1(VALU_DEP_1)
	v_add_f32_e32 v1, v1, v14
	v_add_f32_e32 v1, v1, v15
	s_waitcnt lgkmcnt(0)
	s_delay_alu instid0(VALU_DEP_1) | instskip(NEXT) | instid1(VALU_DEP_1)
	v_add_f32_e32 v1, v1, v16
	v_add_f32_e32 v1, v1, v17
	s_delay_alu instid0(VALU_DEP_1) | instskip(NEXT) | instid1(VALU_DEP_1)
	v_add_f32_e32 v1, v1, v18
	v_add_f32_e32 v1, v1, v19
	s_delay_alu instid0(VALU_DEP_1) | instskip(NEXT) | instid1(VALU_DEP_1)
	v_mov_b32_dpp v12, v1 quad_perm:[1,0,3,2] row_mask:0xf bank_mask:0xf
	v_add_f32_e32 v1, v1, v12
	s_delay_alu instid0(VALU_DEP_1) | instskip(NEXT) | instid1(VALU_DEP_1)
	v_mov_b32_dpp v12, v1 quad_perm:[2,3,0,1] row_mask:0xf bank_mask:0xf
	v_add_f32_e32 v1, v1, v12
	s_delay_alu instid0(VALU_DEP_1) | instskip(NEXT) | instid1(VALU_DEP_1)
	v_mov_b32_dpp v12, v1 row_ror:4 row_mask:0xf bank_mask:0xf
	v_add_f32_e32 v1, v1, v12
	s_delay_alu instid0(VALU_DEP_1) | instskip(NEXT) | instid1(VALU_DEP_1)
	v_mov_b32_dpp v12, v1 row_ror:8 row_mask:0xf bank_mask:0xf
	v_add_f32_e32 v1, v1, v12
	ds_swizzle_b32 v12, v1 offset:swizzle(BROADCAST,32,15)
	s_waitcnt lgkmcnt(0)
	v_add_f32_e32 v1, v1, v12
	ds_bpermute_b32 v1, v10, v1
	s_cbranch_scc0 .LBB116_1
; %bb.2:
	s_set_inst_prefetch_distance 0x2
	s_mov_b32 s5, 0
	s_mov_b32 s0, exec_lo
	v_cmpx_eq_u32_e32 0, v0
	s_cbranch_execz .LBB116_4
; %bb.3:
	s_lshl_b64 s[0:1], s[4:5], 2
	v_mov_b32_e32 v0, 0
	s_add_u32 s0, s2, s0
	s_addc_u32 s1, s3, s1
	s_waitcnt lgkmcnt(0)
	global_store_b32 v0, v1, s[0:1]
.LBB116_4:
	s_nop 0
	s_sendmsg sendmsg(MSG_DEALLOC_VGPRS)
	s_endpgm
	.section	.rodata,"a",@progbits
	.p2align	6, 0x0
	.amdhsa_kernel _Z6kernelI6reduceILN6hipcub20BlockReduceAlgorithmE1EEfLj256ELj8ELj100EEvPKT0_PS4_
		.amdhsa_group_segment_fixed_size 1024
		.amdhsa_private_segment_fixed_size 0
		.amdhsa_kernarg_size 272
		.amdhsa_user_sgpr_count 15
		.amdhsa_user_sgpr_dispatch_ptr 0
		.amdhsa_user_sgpr_queue_ptr 0
		.amdhsa_user_sgpr_kernarg_segment_ptr 1
		.amdhsa_user_sgpr_dispatch_id 0
		.amdhsa_user_sgpr_private_segment_size 0
		.amdhsa_wavefront_size32 1
		.amdhsa_uses_dynamic_stack 0
		.amdhsa_enable_private_segment 0
		.amdhsa_system_sgpr_workgroup_id_x 1
		.amdhsa_system_sgpr_workgroup_id_y 0
		.amdhsa_system_sgpr_workgroup_id_z 0
		.amdhsa_system_sgpr_workgroup_info 0
		.amdhsa_system_vgpr_workitem_id 0
		.amdhsa_next_free_vgpr 20
		.amdhsa_next_free_sgpr 16
		.amdhsa_reserve_vcc 1
		.amdhsa_float_round_mode_32 0
		.amdhsa_float_round_mode_16_64 0
		.amdhsa_float_denorm_mode_32 3
		.amdhsa_float_denorm_mode_16_64 3
		.amdhsa_dx10_clamp 1
		.amdhsa_ieee_mode 1
		.amdhsa_fp16_overflow 0
		.amdhsa_workgroup_processor_mode 1
		.amdhsa_memory_ordered 1
		.amdhsa_forward_progress 0
		.amdhsa_shared_vgpr_count 0
		.amdhsa_exception_fp_ieee_invalid_op 0
		.amdhsa_exception_fp_denorm_src 0
		.amdhsa_exception_fp_ieee_div_zero 0
		.amdhsa_exception_fp_ieee_overflow 0
		.amdhsa_exception_fp_ieee_underflow 0
		.amdhsa_exception_fp_ieee_inexact 0
		.amdhsa_exception_int_div_zero 0
	.end_amdhsa_kernel
	.section	.text._Z6kernelI6reduceILN6hipcub20BlockReduceAlgorithmE1EEfLj256ELj8ELj100EEvPKT0_PS4_,"axG",@progbits,_Z6kernelI6reduceILN6hipcub20BlockReduceAlgorithmE1EEfLj256ELj8ELj100EEvPKT0_PS4_,comdat
.Lfunc_end116:
	.size	_Z6kernelI6reduceILN6hipcub20BlockReduceAlgorithmE1EEfLj256ELj8ELj100EEvPKT0_PS4_, .Lfunc_end116-_Z6kernelI6reduceILN6hipcub20BlockReduceAlgorithmE1EEfLj256ELj8ELj100EEvPKT0_PS4_
                                        ; -- End function
	.section	.AMDGPU.csdata,"",@progbits
; Kernel info:
; codeLenInByte = 432
; NumSgprs: 18
; NumVgprs: 20
; ScratchSize: 0
; MemoryBound: 0
; FloatMode: 240
; IeeeMode: 1
; LDSByteSize: 1024 bytes/workgroup (compile time only)
; SGPRBlocks: 2
; VGPRBlocks: 2
; NumSGPRsForWavesPerEU: 18
; NumVGPRsForWavesPerEU: 20
; Occupancy: 16
; WaveLimiterHint : 0
; COMPUTE_PGM_RSRC2:SCRATCH_EN: 0
; COMPUTE_PGM_RSRC2:USER_SGPR: 15
; COMPUTE_PGM_RSRC2:TRAP_HANDLER: 0
; COMPUTE_PGM_RSRC2:TGID_X_EN: 1
; COMPUTE_PGM_RSRC2:TGID_Y_EN: 0
; COMPUTE_PGM_RSRC2:TGID_Z_EN: 0
; COMPUTE_PGM_RSRC2:TIDIG_COMP_CNT: 0
	.section	.text._Z6kernelI6reduceILN6hipcub20BlockReduceAlgorithmE1EEfLj256ELj11ELj100EEvPKT0_PS4_,"axG",@progbits,_Z6kernelI6reduceILN6hipcub20BlockReduceAlgorithmE1EEfLj256ELj11ELj100EEvPKT0_PS4_,comdat
	.protected	_Z6kernelI6reduceILN6hipcub20BlockReduceAlgorithmE1EEfLj256ELj11ELj100EEvPKT0_PS4_ ; -- Begin function _Z6kernelI6reduceILN6hipcub20BlockReduceAlgorithmE1EEfLj256ELj11ELj100EEvPKT0_PS4_
	.globl	_Z6kernelI6reduceILN6hipcub20BlockReduceAlgorithmE1EEfLj256ELj11ELj100EEvPKT0_PS4_
	.p2align	8
	.type	_Z6kernelI6reduceILN6hipcub20BlockReduceAlgorithmE1EEfLj256ELj11ELj100EEvPKT0_PS4_,@function
_Z6kernelI6reduceILN6hipcub20BlockReduceAlgorithmE1EEfLj256ELj11ELj100EEvPKT0_PS4_: ; @_Z6kernelI6reduceILN6hipcub20BlockReduceAlgorithmE1EEfLj256ELj11ELj100EEvPKT0_PS4_
; %bb.0:
	s_load_b32 s2, s[0:1], 0x1c
	s_mov_b32 s4, s15
	s_waitcnt lgkmcnt(0)
	s_and_b32 s2, s2, 0xffff
	s_delay_alu instid0(SALU_CYCLE_1) | instskip(SKIP_1) | instid1(VALU_DEP_1)
	v_mad_u64_u32 v[1:2], null, s4, s2, v[0:1]
	s_load_b128 s[0:3], s[0:1], 0x0
	v_mul_lo_u32 v1, v1, 11
	s_delay_alu instid0(VALU_DEP_1) | instskip(NEXT) | instid1(VALU_DEP_1)
	v_dual_mov_b32 v2, 0 :: v_dual_add_nc_u32 v3, 1, v1
	v_dual_mov_b32 v4, v2 :: v_dual_add_nc_u32 v5, 2, v1
	v_lshlrev_b64 v[17:18], 2, v[1:2]
	v_dual_mov_b32 v6, v2 :: v_dual_add_nc_u32 v7, 3, v1
	s_delay_alu instid0(VALU_DEP_3) | instskip(SKIP_1) | instid1(VALU_DEP_3)
	v_lshlrev_b64 v[3:4], 2, v[3:4]
	v_dual_mov_b32 v8, v2 :: v_dual_add_nc_u32 v9, 4, v1
	v_lshlrev_b64 v[5:6], 2, v[5:6]
	s_waitcnt lgkmcnt(0)
	v_add_co_u32 v17, vcc_lo, s0, v17
	v_dual_mov_b32 v10, v2 :: v_dual_add_nc_u32 v11, 5, v1
	v_add_co_ci_u32_e32 v18, vcc_lo, s1, v18, vcc_lo
	v_lshlrev_b64 v[7:8], 2, v[7:8]
	v_add_co_u32 v3, vcc_lo, s0, v3
	v_dual_mov_b32 v12, v2 :: v_dual_add_nc_u32 v13, 6, v1
	v_add_co_ci_u32_e32 v4, vcc_lo, s1, v4, vcc_lo
	v_lshlrev_b64 v[9:10], 2, v[9:10]
	v_add_co_u32 v5, vcc_lo, s0, v5
	v_add_co_ci_u32_e32 v6, vcc_lo, s1, v6, vcc_lo
	v_dual_mov_b32 v14, v2 :: v_dual_add_nc_u32 v15, 7, v1
	v_lshlrev_b64 v[11:12], 2, v[11:12]
	v_add_co_u32 v7, vcc_lo, s0, v7
	v_add_co_ci_u32_e32 v8, vcc_lo, s1, v8, vcc_lo
	v_mov_b32_e32 v16, v2
	v_add_co_u32 v9, vcc_lo, s0, v9
	v_lshlrev_b64 v[13:14], 2, v[13:14]
	v_add_co_ci_u32_e32 v10, vcc_lo, s1, v10, vcc_lo
	v_add_co_u32 v19, vcc_lo, s0, v11
	v_add_co_ci_u32_e32 v20, vcc_lo, s1, v12, vcc_lo
	v_lshlrev_b64 v[11:12], 2, v[15:16]
	v_add_nc_u32_e32 v15, 8, v1
	v_add_co_u32 v13, vcc_lo, s0, v13
	v_dual_mov_b32 v22, v2 :: v_dual_add_nc_u32 v21, 9, v1
	v_add_co_ci_u32_e32 v14, vcc_lo, s1, v14, vcc_lo
	s_delay_alu instid0(VALU_DEP_4)
	v_lshlrev_b64 v[15:16], 2, v[15:16]
	v_add_co_u32 v23, vcc_lo, s0, v11
	v_add_nc_u32_e32 v1, 10, v1
	v_add_co_ci_u32_e32 v24, vcc_lo, s1, v12, vcc_lo
	v_lshlrev_b64 v[11:12], 2, v[21:22]
	v_add_co_u32 v15, vcc_lo, s0, v15
	s_delay_alu instid0(VALU_DEP_4) | instskip(SKIP_1) | instid1(VALU_DEP_4)
	v_lshlrev_b64 v[1:2], 2, v[1:2]
	v_add_co_ci_u32_e32 v16, vcc_lo, s1, v16, vcc_lo
	v_add_co_u32 v21, vcc_lo, s0, v11
	v_add_co_ci_u32_e32 v22, vcc_lo, s1, v12, vcc_lo
	s_delay_alu instid0(VALU_DEP_4)
	v_add_co_u32 v25, vcc_lo, s0, v1
	v_add_co_ci_u32_e32 v26, vcc_lo, s1, v2, vcc_lo
	s_clause 0xa
	global_load_b32 v12, v[17:18], off
	global_load_b32 v1, v[3:4], off
	;; [unrolled: 1-line block ×11, first 2 shown]
	v_lshlrev_b32_e32 v11, 2, v0
	v_mul_u32_u24_e32 v14, 28, v0
	v_mov_b32_e32 v13, 0x7c
	s_movk_i32 s0, 0x64
	s_delay_alu instid0(VALU_DEP_2)
	v_add_nc_u32_e32 v14, v11, v14
	s_set_inst_prefetch_distance 0x1
	.p2align	6
.LBB117_1:                              ; =>This Inner Loop Header: Depth=1
	s_waitcnt vmcnt(9) lgkmcnt(0)
	v_add_f32_e32 v12, v1, v12
	s_add_i32 s0, s0, -1
	s_delay_alu instid0(SALU_CYCLE_1) | instskip(SKIP_1) | instid1(VALU_DEP_1)
	s_cmp_eq_u32 s0, 0
	s_waitcnt vmcnt(8)
	v_add_f32_e32 v12, v2, v12
	s_waitcnt vmcnt(7)
	s_delay_alu instid0(VALU_DEP_1) | instskip(SKIP_1) | instid1(VALU_DEP_1)
	v_add_f32_e32 v12, v3, v12
	s_waitcnt vmcnt(6)
	v_add_f32_e32 v12, v4, v12
	s_waitcnt vmcnt(5)
	s_delay_alu instid0(VALU_DEP_1) | instskip(SKIP_1) | instid1(VALU_DEP_1)
	v_add_f32_e32 v12, v5, v12
	;; [unrolled: 5-line block ×4, first 2 shown]
	s_waitcnt vmcnt(0)
	v_add_f32_e32 v12, v10, v12
	ds_store_b32 v11, v12
	s_waitcnt lgkmcnt(0)
	s_barrier
	buffer_gl0_inv
	ds_load_2addr_b64 v[15:18], v14 offset1:1
	ds_load_2addr_b64 v[19:22], v14 offset0:2 offset1:3
	s_waitcnt lgkmcnt(1)
	v_add_f32_e32 v12, v15, v16
	s_delay_alu instid0(VALU_DEP_1) | instskip(NEXT) | instid1(VALU_DEP_1)
	v_add_f32_e32 v12, v12, v17
	v_add_f32_e32 v12, v12, v18
	s_waitcnt lgkmcnt(0)
	s_delay_alu instid0(VALU_DEP_1) | instskip(NEXT) | instid1(VALU_DEP_1)
	v_add_f32_e32 v12, v12, v19
	v_add_f32_e32 v12, v12, v20
	s_delay_alu instid0(VALU_DEP_1) | instskip(NEXT) | instid1(VALU_DEP_1)
	v_add_f32_e32 v12, v12, v21
	v_add_f32_e32 v12, v12, v22
	s_delay_alu instid0(VALU_DEP_1) | instskip(NEXT) | instid1(VALU_DEP_1)
	v_mov_b32_dpp v15, v12 quad_perm:[1,0,3,2] row_mask:0xf bank_mask:0xf
	v_add_f32_e32 v12, v12, v15
	s_delay_alu instid0(VALU_DEP_1) | instskip(NEXT) | instid1(VALU_DEP_1)
	v_mov_b32_dpp v15, v12 quad_perm:[2,3,0,1] row_mask:0xf bank_mask:0xf
	v_add_f32_e32 v12, v12, v15
	s_delay_alu instid0(VALU_DEP_1) | instskip(NEXT) | instid1(VALU_DEP_1)
	v_mov_b32_dpp v15, v12 row_ror:4 row_mask:0xf bank_mask:0xf
	v_add_f32_e32 v12, v12, v15
	s_delay_alu instid0(VALU_DEP_1) | instskip(NEXT) | instid1(VALU_DEP_1)
	v_mov_b32_dpp v15, v12 row_ror:8 row_mask:0xf bank_mask:0xf
	v_add_f32_e32 v12, v12, v15
	ds_swizzle_b32 v15, v12 offset:swizzle(BROADCAST,32,15)
	s_waitcnt lgkmcnt(0)
	v_add_f32_e32 v12, v12, v15
	ds_bpermute_b32 v12, v13, v12
	s_cbranch_scc0 .LBB117_1
; %bb.2:
	s_set_inst_prefetch_distance 0x2
	s_mov_b32 s5, 0
	s_mov_b32 s0, exec_lo
	v_cmpx_eq_u32_e32 0, v0
	s_cbranch_execz .LBB117_4
; %bb.3:
	s_lshl_b64 s[0:1], s[4:5], 2
	v_mov_b32_e32 v0, 0
	s_add_u32 s0, s2, s0
	s_addc_u32 s1, s3, s1
	s_waitcnt lgkmcnt(0)
	global_store_b32 v0, v12, s[0:1]
.LBB117_4:
	s_nop 0
	s_sendmsg sendmsg(MSG_DEALLOC_VGPRS)
	s_endpgm
	.section	.rodata,"a",@progbits
	.p2align	6, 0x0
	.amdhsa_kernel _Z6kernelI6reduceILN6hipcub20BlockReduceAlgorithmE1EEfLj256ELj11ELj100EEvPKT0_PS4_
		.amdhsa_group_segment_fixed_size 1024
		.amdhsa_private_segment_fixed_size 0
		.amdhsa_kernarg_size 272
		.amdhsa_user_sgpr_count 15
		.amdhsa_user_sgpr_dispatch_ptr 0
		.amdhsa_user_sgpr_queue_ptr 0
		.amdhsa_user_sgpr_kernarg_segment_ptr 1
		.amdhsa_user_sgpr_dispatch_id 0
		.amdhsa_user_sgpr_private_segment_size 0
		.amdhsa_wavefront_size32 1
		.amdhsa_uses_dynamic_stack 0
		.amdhsa_enable_private_segment 0
		.amdhsa_system_sgpr_workgroup_id_x 1
		.amdhsa_system_sgpr_workgroup_id_y 0
		.amdhsa_system_sgpr_workgroup_id_z 0
		.amdhsa_system_sgpr_workgroup_info 0
		.amdhsa_system_vgpr_workitem_id 0
		.amdhsa_next_free_vgpr 27
		.amdhsa_next_free_sgpr 16
		.amdhsa_reserve_vcc 1
		.amdhsa_float_round_mode_32 0
		.amdhsa_float_round_mode_16_64 0
		.amdhsa_float_denorm_mode_32 3
		.amdhsa_float_denorm_mode_16_64 3
		.amdhsa_dx10_clamp 1
		.amdhsa_ieee_mode 1
		.amdhsa_fp16_overflow 0
		.amdhsa_workgroup_processor_mode 1
		.amdhsa_memory_ordered 1
		.amdhsa_forward_progress 0
		.amdhsa_shared_vgpr_count 0
		.amdhsa_exception_fp_ieee_invalid_op 0
		.amdhsa_exception_fp_denorm_src 0
		.amdhsa_exception_fp_ieee_div_zero 0
		.amdhsa_exception_fp_ieee_overflow 0
		.amdhsa_exception_fp_ieee_underflow 0
		.amdhsa_exception_fp_ieee_inexact 0
		.amdhsa_exception_int_div_zero 0
	.end_amdhsa_kernel
	.section	.text._Z6kernelI6reduceILN6hipcub20BlockReduceAlgorithmE1EEfLj256ELj11ELj100EEvPKT0_PS4_,"axG",@progbits,_Z6kernelI6reduceILN6hipcub20BlockReduceAlgorithmE1EEfLj256ELj11ELj100EEvPKT0_PS4_,comdat
.Lfunc_end117:
	.size	_Z6kernelI6reduceILN6hipcub20BlockReduceAlgorithmE1EEfLj256ELj11ELj100EEvPKT0_PS4_, .Lfunc_end117-_Z6kernelI6reduceILN6hipcub20BlockReduceAlgorithmE1EEfLj256ELj11ELj100EEvPKT0_PS4_
                                        ; -- End function
	.section	.AMDGPU.csdata,"",@progbits
; Kernel info:
; codeLenInByte = 844
; NumSgprs: 18
; NumVgprs: 27
; ScratchSize: 0
; MemoryBound: 0
; FloatMode: 240
; IeeeMode: 1
; LDSByteSize: 1024 bytes/workgroup (compile time only)
; SGPRBlocks: 2
; VGPRBlocks: 3
; NumSGPRsForWavesPerEU: 18
; NumVGPRsForWavesPerEU: 27
; Occupancy: 16
; WaveLimiterHint : 0
; COMPUTE_PGM_RSRC2:SCRATCH_EN: 0
; COMPUTE_PGM_RSRC2:USER_SGPR: 15
; COMPUTE_PGM_RSRC2:TRAP_HANDLER: 0
; COMPUTE_PGM_RSRC2:TGID_X_EN: 1
; COMPUTE_PGM_RSRC2:TGID_Y_EN: 0
; COMPUTE_PGM_RSRC2:TGID_Z_EN: 0
; COMPUTE_PGM_RSRC2:TIDIG_COMP_CNT: 0
	.section	.text._Z6kernelI6reduceILN6hipcub20BlockReduceAlgorithmE1EEfLj256ELj16ELj100EEvPKT0_PS4_,"axG",@progbits,_Z6kernelI6reduceILN6hipcub20BlockReduceAlgorithmE1EEfLj256ELj16ELj100EEvPKT0_PS4_,comdat
	.protected	_Z6kernelI6reduceILN6hipcub20BlockReduceAlgorithmE1EEfLj256ELj16ELj100EEvPKT0_PS4_ ; -- Begin function _Z6kernelI6reduceILN6hipcub20BlockReduceAlgorithmE1EEfLj256ELj16ELj100EEvPKT0_PS4_
	.globl	_Z6kernelI6reduceILN6hipcub20BlockReduceAlgorithmE1EEfLj256ELj16ELj100EEvPKT0_PS4_
	.p2align	8
	.type	_Z6kernelI6reduceILN6hipcub20BlockReduceAlgorithmE1EEfLj256ELj16ELj100EEvPKT0_PS4_,@function
_Z6kernelI6reduceILN6hipcub20BlockReduceAlgorithmE1EEfLj256ELj16ELj100EEvPKT0_PS4_: ; @_Z6kernelI6reduceILN6hipcub20BlockReduceAlgorithmE1EEfLj256ELj16ELj100EEvPKT0_PS4_
; %bb.0:
	s_clause 0x1
	s_load_b32 s5, s[0:1], 0x1c
	s_load_b128 s[0:3], s[0:1], 0x0
	v_dual_mov_b32 v2, 0 :: v_dual_lshlrev_b32 v17, 2, v0
	v_mul_u32_u24_e32 v19, 28, v0
	v_mov_b32_e32 v18, 0x7c
	s_mov_b32 s4, s15
	s_delay_alu instid0(VALU_DEP_2) | instskip(SKIP_2) | instid1(SALU_CYCLE_1)
	v_add_nc_u32_e32 v19, v17, v19
	s_waitcnt lgkmcnt(0)
	s_and_b32 s5, s5, 0xffff
	s_mul_i32 s5, s15, s5
	s_delay_alu instid0(SALU_CYCLE_1) | instskip(NEXT) | instid1(VALU_DEP_1)
	v_add_lshl_u32 v1, s5, v0, 4
	v_lshlrev_b64 v[1:2], 2, v[1:2]
	s_delay_alu instid0(VALU_DEP_1) | instskip(NEXT) | instid1(VALU_DEP_2)
	v_add_co_u32 v13, vcc_lo, s0, v1
	v_add_co_ci_u32_e32 v14, vcc_lo, s1, v2, vcc_lo
	s_movk_i32 s0, 0x64
	s_clause 0x3
	global_load_b128 v[1:4], v[13:14], off
	global_load_b128 v[5:8], v[13:14], off offset:16
	global_load_b128 v[9:12], v[13:14], off offset:32
	;; [unrolled: 1-line block ×3, first 2 shown]
.LBB118_1:                              ; =>This Inner Loop Header: Depth=1
	s_waitcnt vmcnt(3) lgkmcnt(0)
	v_add_f32_e32 v1, v2, v1
	s_add_i32 s0, s0, -1
	s_delay_alu instid0(SALU_CYCLE_1) | instskip(NEXT) | instid1(VALU_DEP_1)
	s_cmp_eq_u32 s0, 0
	v_add_f32_e32 v1, v3, v1
	s_delay_alu instid0(VALU_DEP_1) | instskip(SKIP_1) | instid1(VALU_DEP_1)
	v_add_f32_e32 v1, v4, v1
	s_waitcnt vmcnt(2)
	v_add_f32_e32 v1, v5, v1
	s_delay_alu instid0(VALU_DEP_1) | instskip(NEXT) | instid1(VALU_DEP_1)
	v_add_f32_e32 v1, v6, v1
	v_add_f32_e32 v1, v7, v1
	s_delay_alu instid0(VALU_DEP_1) | instskip(SKIP_1) | instid1(VALU_DEP_1)
	v_add_f32_e32 v1, v8, v1
	s_waitcnt vmcnt(1)
	v_add_f32_e32 v1, v9, v1
	s_delay_alu instid0(VALU_DEP_1) | instskip(NEXT) | instid1(VALU_DEP_1)
	v_add_f32_e32 v1, v10, v1
	;; [unrolled: 7-line block ×3, first 2 shown]
	v_add_f32_e32 v1, v15, v1
	s_delay_alu instid0(VALU_DEP_1)
	v_add_f32_e32 v1, v16, v1
	ds_store_b32 v17, v1
	s_waitcnt lgkmcnt(0)
	s_barrier
	buffer_gl0_inv
	ds_load_2addr_b64 v[20:23], v19 offset1:1
	ds_load_2addr_b64 v[24:27], v19 offset0:2 offset1:3
	s_waitcnt lgkmcnt(1)
	v_add_f32_e32 v1, v20, v21
	s_delay_alu instid0(VALU_DEP_1) | instskip(NEXT) | instid1(VALU_DEP_1)
	v_add_f32_e32 v1, v1, v22
	v_add_f32_e32 v1, v1, v23
	s_waitcnt lgkmcnt(0)
	s_delay_alu instid0(VALU_DEP_1) | instskip(NEXT) | instid1(VALU_DEP_1)
	v_add_f32_e32 v1, v1, v24
	v_add_f32_e32 v1, v1, v25
	s_delay_alu instid0(VALU_DEP_1) | instskip(NEXT) | instid1(VALU_DEP_1)
	v_add_f32_e32 v1, v1, v26
	v_add_f32_e32 v1, v1, v27
	s_delay_alu instid0(VALU_DEP_1) | instskip(NEXT) | instid1(VALU_DEP_1)
	v_mov_b32_dpp v20, v1 quad_perm:[1,0,3,2] row_mask:0xf bank_mask:0xf
	v_add_f32_e32 v1, v1, v20
	s_delay_alu instid0(VALU_DEP_1) | instskip(NEXT) | instid1(VALU_DEP_1)
	v_mov_b32_dpp v20, v1 quad_perm:[2,3,0,1] row_mask:0xf bank_mask:0xf
	v_add_f32_e32 v1, v1, v20
	s_delay_alu instid0(VALU_DEP_1) | instskip(NEXT) | instid1(VALU_DEP_1)
	v_mov_b32_dpp v20, v1 row_ror:4 row_mask:0xf bank_mask:0xf
	v_add_f32_e32 v1, v1, v20
	s_delay_alu instid0(VALU_DEP_1) | instskip(NEXT) | instid1(VALU_DEP_1)
	v_mov_b32_dpp v20, v1 row_ror:8 row_mask:0xf bank_mask:0xf
	v_add_f32_e32 v1, v1, v20
	ds_swizzle_b32 v20, v1 offset:swizzle(BROADCAST,32,15)
	s_waitcnt lgkmcnt(0)
	v_add_f32_e32 v1, v1, v20
	ds_bpermute_b32 v1, v18, v1
	s_cbranch_scc0 .LBB118_1
; %bb.2:
	s_mov_b32 s5, 0
	s_mov_b32 s0, exec_lo
	v_cmpx_eq_u32_e32 0, v0
	s_cbranch_execz .LBB118_4
; %bb.3:
	s_lshl_b64 s[0:1], s[4:5], 2
	v_mov_b32_e32 v0, 0
	s_add_u32 s0, s2, s0
	s_addc_u32 s1, s3, s1
	s_waitcnt lgkmcnt(0)
	global_store_b32 v0, v1, s[0:1]
.LBB118_4:
	s_nop 0
	s_sendmsg sendmsg(MSG_DEALLOC_VGPRS)
	s_endpgm
	.section	.rodata,"a",@progbits
	.p2align	6, 0x0
	.amdhsa_kernel _Z6kernelI6reduceILN6hipcub20BlockReduceAlgorithmE1EEfLj256ELj16ELj100EEvPKT0_PS4_
		.amdhsa_group_segment_fixed_size 1024
		.amdhsa_private_segment_fixed_size 0
		.amdhsa_kernarg_size 272
		.amdhsa_user_sgpr_count 15
		.amdhsa_user_sgpr_dispatch_ptr 0
		.amdhsa_user_sgpr_queue_ptr 0
		.amdhsa_user_sgpr_kernarg_segment_ptr 1
		.amdhsa_user_sgpr_dispatch_id 0
		.amdhsa_user_sgpr_private_segment_size 0
		.amdhsa_wavefront_size32 1
		.amdhsa_uses_dynamic_stack 0
		.amdhsa_enable_private_segment 0
		.amdhsa_system_sgpr_workgroup_id_x 1
		.amdhsa_system_sgpr_workgroup_id_y 0
		.amdhsa_system_sgpr_workgroup_id_z 0
		.amdhsa_system_sgpr_workgroup_info 0
		.amdhsa_system_vgpr_workitem_id 0
		.amdhsa_next_free_vgpr 28
		.amdhsa_next_free_sgpr 16
		.amdhsa_reserve_vcc 1
		.amdhsa_float_round_mode_32 0
		.amdhsa_float_round_mode_16_64 0
		.amdhsa_float_denorm_mode_32 3
		.amdhsa_float_denorm_mode_16_64 3
		.amdhsa_dx10_clamp 1
		.amdhsa_ieee_mode 1
		.amdhsa_fp16_overflow 0
		.amdhsa_workgroup_processor_mode 1
		.amdhsa_memory_ordered 1
		.amdhsa_forward_progress 0
		.amdhsa_shared_vgpr_count 0
		.amdhsa_exception_fp_ieee_invalid_op 0
		.amdhsa_exception_fp_denorm_src 0
		.amdhsa_exception_fp_ieee_div_zero 0
		.amdhsa_exception_fp_ieee_overflow 0
		.amdhsa_exception_fp_ieee_underflow 0
		.amdhsa_exception_fp_ieee_inexact 0
		.amdhsa_exception_int_div_zero 0
	.end_amdhsa_kernel
	.section	.text._Z6kernelI6reduceILN6hipcub20BlockReduceAlgorithmE1EEfLj256ELj16ELj100EEvPKT0_PS4_,"axG",@progbits,_Z6kernelI6reduceILN6hipcub20BlockReduceAlgorithmE1EEfLj256ELj16ELj100EEvPKT0_PS4_,comdat
.Lfunc_end118:
	.size	_Z6kernelI6reduceILN6hipcub20BlockReduceAlgorithmE1EEfLj256ELj16ELj100EEvPKT0_PS4_, .Lfunc_end118-_Z6kernelI6reduceILN6hipcub20BlockReduceAlgorithmE1EEfLj256ELj16ELj100EEvPKT0_PS4_
                                        ; -- End function
	.section	.AMDGPU.csdata,"",@progbits
; Kernel info:
; codeLenInByte = 496
; NumSgprs: 18
; NumVgprs: 28
; ScratchSize: 0
; MemoryBound: 0
; FloatMode: 240
; IeeeMode: 1
; LDSByteSize: 1024 bytes/workgroup (compile time only)
; SGPRBlocks: 2
; VGPRBlocks: 3
; NumSGPRsForWavesPerEU: 18
; NumVGPRsForWavesPerEU: 28
; Occupancy: 16
; WaveLimiterHint : 0
; COMPUTE_PGM_RSRC2:SCRATCH_EN: 0
; COMPUTE_PGM_RSRC2:USER_SGPR: 15
; COMPUTE_PGM_RSRC2:TRAP_HANDLER: 0
; COMPUTE_PGM_RSRC2:TGID_X_EN: 1
; COMPUTE_PGM_RSRC2:TGID_Y_EN: 0
; COMPUTE_PGM_RSRC2:TGID_Z_EN: 0
; COMPUTE_PGM_RSRC2:TIDIG_COMP_CNT: 0
	.section	.text._Z6kernelI6reduceILN6hipcub20BlockReduceAlgorithmE1EEdLj256ELj1ELj100EEvPKT0_PS4_,"axG",@progbits,_Z6kernelI6reduceILN6hipcub20BlockReduceAlgorithmE1EEdLj256ELj1ELj100EEvPKT0_PS4_,comdat
	.protected	_Z6kernelI6reduceILN6hipcub20BlockReduceAlgorithmE1EEdLj256ELj1ELj100EEvPKT0_PS4_ ; -- Begin function _Z6kernelI6reduceILN6hipcub20BlockReduceAlgorithmE1EEdLj256ELj1ELj100EEvPKT0_PS4_
	.globl	_Z6kernelI6reduceILN6hipcub20BlockReduceAlgorithmE1EEdLj256ELj1ELj100EEvPKT0_PS4_
	.p2align	8
	.type	_Z6kernelI6reduceILN6hipcub20BlockReduceAlgorithmE1EEdLj256ELj1ELj100EEvPKT0_PS4_,@function
_Z6kernelI6reduceILN6hipcub20BlockReduceAlgorithmE1EEdLj256ELj1ELj100EEvPKT0_PS4_: ; @_Z6kernelI6reduceILN6hipcub20BlockReduceAlgorithmE1EEdLj256ELj1ELj100EEvPKT0_PS4_
; %bb.0:
	s_clause 0x1
	s_load_b32 s5, s[0:1], 0x1c
	s_load_b128 s[0:3], s[0:1], 0x0
	s_mov_b32 s4, s15
	v_mul_u32_u24_e32 v5, 28, v0
	v_dual_mov_b32 v4, 0x7c :: v_dual_lshlrev_b32 v3, 2, v0
	s_delay_alu instid0(VALU_DEP_1) | instskip(SKIP_2) | instid1(SALU_CYCLE_1)
	v_add_nc_u32_e32 v5, v3, v5
	s_waitcnt lgkmcnt(0)
	s_and_b32 s5, s5, 0xffff
	v_mad_u64_u32 v[1:2], null, s4, s5, v[0:1]
	v_mov_b32_e32 v2, 0
	s_delay_alu instid0(VALU_DEP_1) | instskip(NEXT) | instid1(VALU_DEP_1)
	v_lshlrev_b64 v[1:2], 3, v[1:2]
	v_add_co_u32 v1, vcc_lo, s0, v1
	s_delay_alu instid0(VALU_DEP_2)
	v_add_co_ci_u32_e32 v2, vcc_lo, s1, v2, vcc_lo
	s_movk_i32 s0, 0x64
	global_load_b64 v[1:2], v[1:2], off
.LBB119_1:                              ; =>This Inner Loop Header: Depth=1
	s_waitcnt vmcnt(0) lgkmcnt(0)
	ds_store_2addr_stride64_b32 v3, v1, v2 offset1:4
	s_waitcnt lgkmcnt(0)
	s_barrier
	buffer_gl0_inv
	ds_load_2addr_b64 v[6:9], v5 offset1:1
	ds_load_2addr_b64 v[10:13], v5 offset0:128 offset1:129
	ds_load_2addr_b64 v[14:17], v5 offset0:2 offset1:3
	;; [unrolled: 1-line block ×3, first 2 shown]
	s_add_i32 s0, s0, -1
	s_delay_alu instid0(SALU_CYCLE_1)
	s_cmp_eq_u32 s0, 0
	s_waitcnt lgkmcnt(3)
	v_mov_b32_e32 v1, v6
	s_waitcnt lgkmcnt(2)
	v_mov_b32_e32 v2, v10
	v_mov_b32_e32 v10, v7
	s_waitcnt lgkmcnt(1)
	v_mov_b32_e32 v6, v14
	s_waitcnt lgkmcnt(0)
	v_dual_mov_b32 v7, v18 :: v_dual_mov_b32 v18, v15
	v_add_f64 v[1:2], v[1:2], v[10:11]
	v_mov_b32_e32 v11, v8
	s_delay_alu instid0(VALU_DEP_1) | instskip(SKIP_1) | instid1(VALU_DEP_1)
	v_add_f64 v[1:2], v[1:2], v[11:12]
	v_mov_b32_e32 v12, v9
	v_add_f64 v[1:2], v[1:2], v[12:13]
	s_delay_alu instid0(VALU_DEP_1) | instskip(NEXT) | instid1(VALU_DEP_1)
	v_add_f64 v[1:2], v[1:2], v[6:7]
	v_add_f64 v[1:2], v[1:2], v[18:19]
	v_mov_b32_e32 v19, v16
	s_delay_alu instid0(VALU_DEP_1) | instskip(SKIP_1) | instid1(VALU_DEP_1)
	v_add_f64 v[1:2], v[1:2], v[19:20]
	v_mov_b32_e32 v20, v17
	v_add_f64 v[1:2], v[1:2], v[20:21]
	s_delay_alu instid0(VALU_DEP_1) | instskip(NEXT) | instid1(VALU_DEP_2)
	v_mov_b32_dpp v6, v1 quad_perm:[1,0,3,2] row_mask:0xf bank_mask:0xf
	v_mov_b32_dpp v7, v2 quad_perm:[1,0,3,2] row_mask:0xf bank_mask:0xf
	s_delay_alu instid0(VALU_DEP_1) | instskip(NEXT) | instid1(VALU_DEP_1)
	v_add_f64 v[1:2], v[1:2], v[6:7]
	v_mov_b32_dpp v6, v1 quad_perm:[2,3,0,1] row_mask:0xf bank_mask:0xf
	s_delay_alu instid0(VALU_DEP_2) | instskip(NEXT) | instid1(VALU_DEP_1)
	v_mov_b32_dpp v7, v2 quad_perm:[2,3,0,1] row_mask:0xf bank_mask:0xf
	v_add_f64 v[1:2], v[1:2], v[6:7]
	s_delay_alu instid0(VALU_DEP_1) | instskip(NEXT) | instid1(VALU_DEP_2)
	v_mov_b32_dpp v6, v1 row_ror:4 row_mask:0xf bank_mask:0xf
	v_mov_b32_dpp v7, v2 row_ror:4 row_mask:0xf bank_mask:0xf
	s_delay_alu instid0(VALU_DEP_1) | instskip(NEXT) | instid1(VALU_DEP_1)
	v_add_f64 v[1:2], v[1:2], v[6:7]
	v_mov_b32_dpp v6, v1 row_ror:8 row_mask:0xf bank_mask:0xf
	s_delay_alu instid0(VALU_DEP_2) | instskip(NEXT) | instid1(VALU_DEP_1)
	v_mov_b32_dpp v7, v2 row_ror:8 row_mask:0xf bank_mask:0xf
	v_add_f64 v[1:2], v[1:2], v[6:7]
	ds_swizzle_b32 v6, v1 offset:swizzle(BROADCAST,32,15)
	ds_swizzle_b32 v7, v2 offset:swizzle(BROADCAST,32,15)
	s_waitcnt lgkmcnt(0)
	v_add_f64 v[1:2], v[1:2], v[6:7]
	ds_bpermute_b32 v1, v4, v1
	ds_bpermute_b32 v2, v4, v2
	s_cbranch_scc0 .LBB119_1
; %bb.2:
	s_mov_b32 s5, 0
	s_mov_b32 s0, exec_lo
	v_cmpx_eq_u32_e32 0, v0
	s_cbranch_execz .LBB119_4
; %bb.3:
	s_lshl_b64 s[0:1], s[4:5], 3
	v_mov_b32_e32 v0, 0
	s_add_u32 s0, s2, s0
	s_addc_u32 s1, s3, s1
	s_waitcnt lgkmcnt(0)
	global_store_b64 v0, v[1:2], s[0:1]
.LBB119_4:
	s_nop 0
	s_sendmsg sendmsg(MSG_DEALLOC_VGPRS)
	s_endpgm
	.section	.rodata,"a",@progbits
	.p2align	6, 0x0
	.amdhsa_kernel _Z6kernelI6reduceILN6hipcub20BlockReduceAlgorithmE1EEdLj256ELj1ELj100EEvPKT0_PS4_
		.amdhsa_group_segment_fixed_size 2048
		.amdhsa_private_segment_fixed_size 0
		.amdhsa_kernarg_size 272
		.amdhsa_user_sgpr_count 15
		.amdhsa_user_sgpr_dispatch_ptr 0
		.amdhsa_user_sgpr_queue_ptr 0
		.amdhsa_user_sgpr_kernarg_segment_ptr 1
		.amdhsa_user_sgpr_dispatch_id 0
		.amdhsa_user_sgpr_private_segment_size 0
		.amdhsa_wavefront_size32 1
		.amdhsa_uses_dynamic_stack 0
		.amdhsa_enable_private_segment 0
		.amdhsa_system_sgpr_workgroup_id_x 1
		.amdhsa_system_sgpr_workgroup_id_y 0
		.amdhsa_system_sgpr_workgroup_id_z 0
		.amdhsa_system_sgpr_workgroup_info 0
		.amdhsa_system_vgpr_workitem_id 0
		.amdhsa_next_free_vgpr 22
		.amdhsa_next_free_sgpr 16
		.amdhsa_reserve_vcc 1
		.amdhsa_float_round_mode_32 0
		.amdhsa_float_round_mode_16_64 0
		.amdhsa_float_denorm_mode_32 3
		.amdhsa_float_denorm_mode_16_64 3
		.amdhsa_dx10_clamp 1
		.amdhsa_ieee_mode 1
		.amdhsa_fp16_overflow 0
		.amdhsa_workgroup_processor_mode 1
		.amdhsa_memory_ordered 1
		.amdhsa_forward_progress 0
		.amdhsa_shared_vgpr_count 0
		.amdhsa_exception_fp_ieee_invalid_op 0
		.amdhsa_exception_fp_denorm_src 0
		.amdhsa_exception_fp_ieee_div_zero 0
		.amdhsa_exception_fp_ieee_overflow 0
		.amdhsa_exception_fp_ieee_underflow 0
		.amdhsa_exception_fp_ieee_inexact 0
		.amdhsa_exception_int_div_zero 0
	.end_amdhsa_kernel
	.section	.text._Z6kernelI6reduceILN6hipcub20BlockReduceAlgorithmE1EEdLj256ELj1ELj100EEvPKT0_PS4_,"axG",@progbits,_Z6kernelI6reduceILN6hipcub20BlockReduceAlgorithmE1EEdLj256ELj1ELj100EEvPKT0_PS4_,comdat
.Lfunc_end119:
	.size	_Z6kernelI6reduceILN6hipcub20BlockReduceAlgorithmE1EEdLj256ELj1ELj100EEvPKT0_PS4_, .Lfunc_end119-_Z6kernelI6reduceILN6hipcub20BlockReduceAlgorithmE1EEdLj256ELj1ELj100EEvPKT0_PS4_
                                        ; -- End function
	.section	.AMDGPU.csdata,"",@progbits
; Kernel info:
; codeLenInByte = 532
; NumSgprs: 18
; NumVgprs: 22
; ScratchSize: 0
; MemoryBound: 0
; FloatMode: 240
; IeeeMode: 1
; LDSByteSize: 2048 bytes/workgroup (compile time only)
; SGPRBlocks: 2
; VGPRBlocks: 2
; NumSGPRsForWavesPerEU: 18
; NumVGPRsForWavesPerEU: 22
; Occupancy: 16
; WaveLimiterHint : 0
; COMPUTE_PGM_RSRC2:SCRATCH_EN: 0
; COMPUTE_PGM_RSRC2:USER_SGPR: 15
; COMPUTE_PGM_RSRC2:TRAP_HANDLER: 0
; COMPUTE_PGM_RSRC2:TGID_X_EN: 1
; COMPUTE_PGM_RSRC2:TGID_Y_EN: 0
; COMPUTE_PGM_RSRC2:TGID_Z_EN: 0
; COMPUTE_PGM_RSRC2:TIDIG_COMP_CNT: 0
	.section	.text._Z6kernelI6reduceILN6hipcub20BlockReduceAlgorithmE1EEdLj256ELj2ELj100EEvPKT0_PS4_,"axG",@progbits,_Z6kernelI6reduceILN6hipcub20BlockReduceAlgorithmE1EEdLj256ELj2ELj100EEvPKT0_PS4_,comdat
	.protected	_Z6kernelI6reduceILN6hipcub20BlockReduceAlgorithmE1EEdLj256ELj2ELj100EEvPKT0_PS4_ ; -- Begin function _Z6kernelI6reduceILN6hipcub20BlockReduceAlgorithmE1EEdLj256ELj2ELj100EEvPKT0_PS4_
	.globl	_Z6kernelI6reduceILN6hipcub20BlockReduceAlgorithmE1EEdLj256ELj2ELj100EEvPKT0_PS4_
	.p2align	8
	.type	_Z6kernelI6reduceILN6hipcub20BlockReduceAlgorithmE1EEdLj256ELj2ELj100EEvPKT0_PS4_,@function
_Z6kernelI6reduceILN6hipcub20BlockReduceAlgorithmE1EEdLj256ELj2ELj100EEvPKT0_PS4_: ; @_Z6kernelI6reduceILN6hipcub20BlockReduceAlgorithmE1EEdLj256ELj2ELj100EEvPKT0_PS4_
; %bb.0:
	s_clause 0x1
	s_load_b32 s5, s[0:1], 0x1c
	s_load_b128 s[0:3], s[0:1], 0x0
	v_dual_mov_b32 v2, 0 :: v_dual_lshlrev_b32 v5, 2, v0
	v_mul_u32_u24_e32 v7, 28, v0
	v_mov_b32_e32 v6, 0x7c
	s_mov_b32 s4, s15
	s_delay_alu instid0(VALU_DEP_2) | instskip(SKIP_2) | instid1(SALU_CYCLE_1)
	v_add_nc_u32_e32 v7, v5, v7
	s_waitcnt lgkmcnt(0)
	s_and_b32 s5, s5, 0xffff
	s_mul_i32 s5, s15, s5
	s_delay_alu instid0(SALU_CYCLE_1) | instskip(NEXT) | instid1(VALU_DEP_1)
	v_add_lshl_u32 v1, s5, v0, 1
	v_lshlrev_b64 v[1:2], 3, v[1:2]
	s_delay_alu instid0(VALU_DEP_1) | instskip(NEXT) | instid1(VALU_DEP_2)
	v_add_co_u32 v1, vcc_lo, s0, v1
	v_add_co_ci_u32_e32 v2, vcc_lo, s1, v2, vcc_lo
	s_movk_i32 s0, 0x64
	global_load_b128 v[1:4], v[1:2], off
.LBB120_1:                              ; =>This Inner Loop Header: Depth=1
	s_waitcnt vmcnt(0) lgkmcnt(0)
	v_add_f64 v[1:2], v[1:2], v[3:4]
	s_add_i32 s0, s0, -1
	s_delay_alu instid0(SALU_CYCLE_1)
	s_cmp_eq_u32 s0, 0
	ds_store_2addr_stride64_b32 v5, v1, v2 offset1:4
	s_waitcnt lgkmcnt(0)
	s_barrier
	buffer_gl0_inv
	ds_load_2addr_b64 v[8:11], v7 offset1:1
	ds_load_2addr_b64 v[12:15], v7 offset0:128 offset1:129
	ds_load_2addr_b64 v[16:19], v7 offset0:2 offset1:3
	;; [unrolled: 1-line block ×3, first 2 shown]
	s_waitcnt lgkmcnt(3)
	v_mov_b32_e32 v1, v8
	s_waitcnt lgkmcnt(2)
	v_mov_b32_e32 v2, v12
	v_mov_b32_e32 v12, v9
	s_waitcnt lgkmcnt(1)
	v_mov_b32_e32 v8, v16
	s_waitcnt lgkmcnt(0)
	v_dual_mov_b32 v9, v20 :: v_dual_mov_b32 v20, v17
	v_add_f64 v[1:2], v[1:2], v[12:13]
	v_mov_b32_e32 v13, v10
	s_delay_alu instid0(VALU_DEP_1) | instskip(SKIP_1) | instid1(VALU_DEP_1)
	v_add_f64 v[1:2], v[1:2], v[13:14]
	v_mov_b32_e32 v14, v11
	v_add_f64 v[1:2], v[1:2], v[14:15]
	s_delay_alu instid0(VALU_DEP_1) | instskip(NEXT) | instid1(VALU_DEP_1)
	v_add_f64 v[1:2], v[1:2], v[8:9]
	v_add_f64 v[1:2], v[1:2], v[20:21]
	v_mov_b32_e32 v21, v18
	s_delay_alu instid0(VALU_DEP_1) | instskip(SKIP_1) | instid1(VALU_DEP_1)
	v_add_f64 v[1:2], v[1:2], v[21:22]
	v_mov_b32_e32 v22, v19
	v_add_f64 v[1:2], v[1:2], v[22:23]
	s_delay_alu instid0(VALU_DEP_1) | instskip(NEXT) | instid1(VALU_DEP_2)
	v_mov_b32_dpp v8, v1 quad_perm:[1,0,3,2] row_mask:0xf bank_mask:0xf
	v_mov_b32_dpp v9, v2 quad_perm:[1,0,3,2] row_mask:0xf bank_mask:0xf
	s_delay_alu instid0(VALU_DEP_1) | instskip(NEXT) | instid1(VALU_DEP_1)
	v_add_f64 v[1:2], v[1:2], v[8:9]
	v_mov_b32_dpp v8, v1 quad_perm:[2,3,0,1] row_mask:0xf bank_mask:0xf
	s_delay_alu instid0(VALU_DEP_2) | instskip(NEXT) | instid1(VALU_DEP_1)
	v_mov_b32_dpp v9, v2 quad_perm:[2,3,0,1] row_mask:0xf bank_mask:0xf
	v_add_f64 v[1:2], v[1:2], v[8:9]
	s_delay_alu instid0(VALU_DEP_1) | instskip(NEXT) | instid1(VALU_DEP_2)
	v_mov_b32_dpp v8, v1 row_ror:4 row_mask:0xf bank_mask:0xf
	v_mov_b32_dpp v9, v2 row_ror:4 row_mask:0xf bank_mask:0xf
	s_delay_alu instid0(VALU_DEP_1) | instskip(NEXT) | instid1(VALU_DEP_1)
	v_add_f64 v[1:2], v[1:2], v[8:9]
	v_mov_b32_dpp v8, v1 row_ror:8 row_mask:0xf bank_mask:0xf
	s_delay_alu instid0(VALU_DEP_2) | instskip(NEXT) | instid1(VALU_DEP_1)
	v_mov_b32_dpp v9, v2 row_ror:8 row_mask:0xf bank_mask:0xf
	v_add_f64 v[1:2], v[1:2], v[8:9]
	ds_swizzle_b32 v8, v1 offset:swizzle(BROADCAST,32,15)
	ds_swizzle_b32 v9, v2 offset:swizzle(BROADCAST,32,15)
	s_waitcnt lgkmcnt(0)
	v_add_f64 v[1:2], v[1:2], v[8:9]
	ds_bpermute_b32 v1, v6, v1
	ds_bpermute_b32 v2, v6, v2
	s_cbranch_scc0 .LBB120_1
; %bb.2:
	s_mov_b32 s5, 0
	s_mov_b32 s0, exec_lo
	v_cmpx_eq_u32_e32 0, v0
	s_cbranch_execz .LBB120_4
; %bb.3:
	s_lshl_b64 s[0:1], s[4:5], 3
	v_mov_b32_e32 v0, 0
	s_add_u32 s0, s2, s0
	s_addc_u32 s1, s3, s1
	s_waitcnt lgkmcnt(0)
	global_store_b64 v0, v[1:2], s[0:1]
.LBB120_4:
	s_nop 0
	s_sendmsg sendmsg(MSG_DEALLOC_VGPRS)
	s_endpgm
	.section	.rodata,"a",@progbits
	.p2align	6, 0x0
	.amdhsa_kernel _Z6kernelI6reduceILN6hipcub20BlockReduceAlgorithmE1EEdLj256ELj2ELj100EEvPKT0_PS4_
		.amdhsa_group_segment_fixed_size 2048
		.amdhsa_private_segment_fixed_size 0
		.amdhsa_kernarg_size 272
		.amdhsa_user_sgpr_count 15
		.amdhsa_user_sgpr_dispatch_ptr 0
		.amdhsa_user_sgpr_queue_ptr 0
		.amdhsa_user_sgpr_kernarg_segment_ptr 1
		.amdhsa_user_sgpr_dispatch_id 0
		.amdhsa_user_sgpr_private_segment_size 0
		.amdhsa_wavefront_size32 1
		.amdhsa_uses_dynamic_stack 0
		.amdhsa_enable_private_segment 0
		.amdhsa_system_sgpr_workgroup_id_x 1
		.amdhsa_system_sgpr_workgroup_id_y 0
		.amdhsa_system_sgpr_workgroup_id_z 0
		.amdhsa_system_sgpr_workgroup_info 0
		.amdhsa_system_vgpr_workitem_id 0
		.amdhsa_next_free_vgpr 24
		.amdhsa_next_free_sgpr 16
		.amdhsa_reserve_vcc 1
		.amdhsa_float_round_mode_32 0
		.amdhsa_float_round_mode_16_64 0
		.amdhsa_float_denorm_mode_32 3
		.amdhsa_float_denorm_mode_16_64 3
		.amdhsa_dx10_clamp 1
		.amdhsa_ieee_mode 1
		.amdhsa_fp16_overflow 0
		.amdhsa_workgroup_processor_mode 1
		.amdhsa_memory_ordered 1
		.amdhsa_forward_progress 0
		.amdhsa_shared_vgpr_count 0
		.amdhsa_exception_fp_ieee_invalid_op 0
		.amdhsa_exception_fp_denorm_src 0
		.amdhsa_exception_fp_ieee_div_zero 0
		.amdhsa_exception_fp_ieee_overflow 0
		.amdhsa_exception_fp_ieee_underflow 0
		.amdhsa_exception_fp_ieee_inexact 0
		.amdhsa_exception_int_div_zero 0
	.end_amdhsa_kernel
	.section	.text._Z6kernelI6reduceILN6hipcub20BlockReduceAlgorithmE1EEdLj256ELj2ELj100EEvPKT0_PS4_,"axG",@progbits,_Z6kernelI6reduceILN6hipcub20BlockReduceAlgorithmE1EEdLj256ELj2ELj100EEvPKT0_PS4_,comdat
.Lfunc_end120:
	.size	_Z6kernelI6reduceILN6hipcub20BlockReduceAlgorithmE1EEdLj256ELj2ELj100EEvPKT0_PS4_, .Lfunc_end120-_Z6kernelI6reduceILN6hipcub20BlockReduceAlgorithmE1EEdLj256ELj2ELj100EEvPKT0_PS4_
                                        ; -- End function
	.section	.AMDGPU.csdata,"",@progbits
; Kernel info:
; codeLenInByte = 544
; NumSgprs: 18
; NumVgprs: 24
; ScratchSize: 0
; MemoryBound: 0
; FloatMode: 240
; IeeeMode: 1
; LDSByteSize: 2048 bytes/workgroup (compile time only)
; SGPRBlocks: 2
; VGPRBlocks: 2
; NumSGPRsForWavesPerEU: 18
; NumVGPRsForWavesPerEU: 24
; Occupancy: 16
; WaveLimiterHint : 0
; COMPUTE_PGM_RSRC2:SCRATCH_EN: 0
; COMPUTE_PGM_RSRC2:USER_SGPR: 15
; COMPUTE_PGM_RSRC2:TRAP_HANDLER: 0
; COMPUTE_PGM_RSRC2:TGID_X_EN: 1
; COMPUTE_PGM_RSRC2:TGID_Y_EN: 0
; COMPUTE_PGM_RSRC2:TGID_Z_EN: 0
; COMPUTE_PGM_RSRC2:TIDIG_COMP_CNT: 0
	.section	.text._Z6kernelI6reduceILN6hipcub20BlockReduceAlgorithmE1EEdLj256ELj3ELj100EEvPKT0_PS4_,"axG",@progbits,_Z6kernelI6reduceILN6hipcub20BlockReduceAlgorithmE1EEdLj256ELj3ELj100EEvPKT0_PS4_,comdat
	.protected	_Z6kernelI6reduceILN6hipcub20BlockReduceAlgorithmE1EEdLj256ELj3ELj100EEvPKT0_PS4_ ; -- Begin function _Z6kernelI6reduceILN6hipcub20BlockReduceAlgorithmE1EEdLj256ELj3ELj100EEvPKT0_PS4_
	.globl	_Z6kernelI6reduceILN6hipcub20BlockReduceAlgorithmE1EEdLj256ELj3ELj100EEvPKT0_PS4_
	.p2align	8
	.type	_Z6kernelI6reduceILN6hipcub20BlockReduceAlgorithmE1EEdLj256ELj3ELj100EEvPKT0_PS4_,@function
_Z6kernelI6reduceILN6hipcub20BlockReduceAlgorithmE1EEdLj256ELj3ELj100EEvPKT0_PS4_: ; @_Z6kernelI6reduceILN6hipcub20BlockReduceAlgorithmE1EEdLj256ELj3ELj100EEvPKT0_PS4_
; %bb.0:
	s_load_b32 s2, s[0:1], 0x1c
	s_mov_b32 s4, s15
	v_mul_u32_u24_e32 v9, 28, v0
	s_waitcnt lgkmcnt(0)
	s_and_b32 s2, s2, 0xffff
	s_delay_alu instid0(SALU_CYCLE_1) | instskip(SKIP_1) | instid1(VALU_DEP_1)
	v_mad_u64_u32 v[1:2], null, s4, s2, v[0:1]
	s_load_b128 s[0:3], s[0:1], 0x0
	v_lshl_add_u32 v1, v1, 1, v1
	s_delay_alu instid0(VALU_DEP_1) | instskip(NEXT) | instid1(VALU_DEP_1)
	v_dual_mov_b32 v2, 0 :: v_dual_add_nc_u32 v3, 1, v1
	v_mov_b32_e32 v4, v2
	v_lshlrev_b64 v[5:6], 3, v[1:2]
	v_add_nc_u32_e32 v1, 2, v1
	s_delay_alu instid0(VALU_DEP_3) | instskip(NEXT) | instid1(VALU_DEP_2)
	v_lshlrev_b64 v[3:4], 3, v[3:4]
	v_lshlrev_b64 v[1:2], 3, v[1:2]
	s_waitcnt lgkmcnt(0)
	s_delay_alu instid0(VALU_DEP_4) | instskip(SKIP_1) | instid1(VALU_DEP_4)
	v_add_co_u32 v5, vcc_lo, s0, v5
	v_add_co_ci_u32_e32 v6, vcc_lo, s1, v6, vcc_lo
	v_add_co_u32 v3, vcc_lo, s0, v3
	v_add_co_ci_u32_e32 v4, vcc_lo, s1, v4, vcc_lo
	;; [unrolled: 2-line block ×3, first 2 shown]
	s_clause 0x2
	global_load_b64 v[5:6], v[5:6], off
	global_load_b64 v[1:2], v[3:4], off
	;; [unrolled: 1-line block ×3, first 2 shown]
	v_dual_mov_b32 v8, 0x7c :: v_dual_lshlrev_b32 v7, 2, v0
	s_movk_i32 s0, 0x64
	s_delay_alu instid0(VALU_DEP_1)
	v_add_nc_u32_e32 v9, v7, v9
.LBB121_1:                              ; =>This Inner Loop Header: Depth=1
	s_waitcnt vmcnt(1) lgkmcnt(0)
	v_add_f64 v[5:6], v[5:6], v[1:2]
	s_add_i32 s0, s0, -1
	s_delay_alu instid0(SALU_CYCLE_1) | instskip(SKIP_1) | instid1(VALU_DEP_1)
	s_cmp_eq_u32 s0, 0
	s_waitcnt vmcnt(0)
	v_add_f64 v[5:6], v[3:4], v[5:6]
	ds_store_2addr_stride64_b32 v7, v5, v6 offset1:4
	s_waitcnt lgkmcnt(0)
	s_barrier
	buffer_gl0_inv
	ds_load_2addr_b64 v[10:13], v9 offset1:1
	ds_load_2addr_b64 v[14:17], v9 offset0:128 offset1:129
	ds_load_2addr_b64 v[18:21], v9 offset0:2 offset1:3
	;; [unrolled: 1-line block ×3, first 2 shown]
	s_waitcnt lgkmcnt(3)
	v_mov_b32_e32 v5, v10
	s_waitcnt lgkmcnt(2)
	v_mov_b32_e32 v6, v14
	v_mov_b32_e32 v14, v11
	s_waitcnt lgkmcnt(1)
	v_mov_b32_e32 v10, v18
	s_waitcnt lgkmcnt(0)
	v_dual_mov_b32 v11, v22 :: v_dual_mov_b32 v22, v19
	v_add_f64 v[5:6], v[5:6], v[14:15]
	v_mov_b32_e32 v15, v12
	s_delay_alu instid0(VALU_DEP_1) | instskip(SKIP_1) | instid1(VALU_DEP_1)
	v_add_f64 v[5:6], v[5:6], v[15:16]
	v_mov_b32_e32 v16, v13
	v_add_f64 v[5:6], v[5:6], v[16:17]
	s_delay_alu instid0(VALU_DEP_1) | instskip(NEXT) | instid1(VALU_DEP_1)
	v_add_f64 v[5:6], v[5:6], v[10:11]
	v_add_f64 v[5:6], v[5:6], v[22:23]
	v_mov_b32_e32 v23, v20
	s_delay_alu instid0(VALU_DEP_1) | instskip(SKIP_1) | instid1(VALU_DEP_1)
	v_add_f64 v[5:6], v[5:6], v[23:24]
	v_mov_b32_e32 v24, v21
	v_add_f64 v[5:6], v[5:6], v[24:25]
	s_delay_alu instid0(VALU_DEP_1) | instskip(NEXT) | instid1(VALU_DEP_2)
	v_mov_b32_dpp v10, v5 quad_perm:[1,0,3,2] row_mask:0xf bank_mask:0xf
	v_mov_b32_dpp v11, v6 quad_perm:[1,0,3,2] row_mask:0xf bank_mask:0xf
	s_delay_alu instid0(VALU_DEP_1) | instskip(NEXT) | instid1(VALU_DEP_1)
	v_add_f64 v[5:6], v[5:6], v[10:11]
	v_mov_b32_dpp v10, v5 quad_perm:[2,3,0,1] row_mask:0xf bank_mask:0xf
	s_delay_alu instid0(VALU_DEP_2) | instskip(NEXT) | instid1(VALU_DEP_1)
	v_mov_b32_dpp v11, v6 quad_perm:[2,3,0,1] row_mask:0xf bank_mask:0xf
	v_add_f64 v[5:6], v[5:6], v[10:11]
	s_delay_alu instid0(VALU_DEP_1) | instskip(NEXT) | instid1(VALU_DEP_2)
	v_mov_b32_dpp v10, v5 row_ror:4 row_mask:0xf bank_mask:0xf
	v_mov_b32_dpp v11, v6 row_ror:4 row_mask:0xf bank_mask:0xf
	s_delay_alu instid0(VALU_DEP_1) | instskip(NEXT) | instid1(VALU_DEP_1)
	v_add_f64 v[5:6], v[5:6], v[10:11]
	v_mov_b32_dpp v10, v5 row_ror:8 row_mask:0xf bank_mask:0xf
	s_delay_alu instid0(VALU_DEP_2) | instskip(NEXT) | instid1(VALU_DEP_1)
	v_mov_b32_dpp v11, v6 row_ror:8 row_mask:0xf bank_mask:0xf
	v_add_f64 v[5:6], v[5:6], v[10:11]
	ds_swizzle_b32 v10, v5 offset:swizzle(BROADCAST,32,15)
	ds_swizzle_b32 v11, v6 offset:swizzle(BROADCAST,32,15)
	s_waitcnt lgkmcnt(0)
	v_add_f64 v[5:6], v[5:6], v[10:11]
	ds_bpermute_b32 v5, v8, v5
	ds_bpermute_b32 v6, v8, v6
	s_cbranch_scc0 .LBB121_1
; %bb.2:
	s_mov_b32 s5, 0
	s_mov_b32 s0, exec_lo
	v_cmpx_eq_u32_e32 0, v0
	s_cbranch_execz .LBB121_4
; %bb.3:
	s_lshl_b64 s[0:1], s[4:5], 3
	v_mov_b32_e32 v0, 0
	s_add_u32 s0, s2, s0
	s_addc_u32 s1, s3, s1
	s_waitcnt lgkmcnt(0)
	global_store_b64 v0, v[5:6], s[0:1]
.LBB121_4:
	s_nop 0
	s_sendmsg sendmsg(MSG_DEALLOC_VGPRS)
	s_endpgm
	.section	.rodata,"a",@progbits
	.p2align	6, 0x0
	.amdhsa_kernel _Z6kernelI6reduceILN6hipcub20BlockReduceAlgorithmE1EEdLj256ELj3ELj100EEvPKT0_PS4_
		.amdhsa_group_segment_fixed_size 2048
		.amdhsa_private_segment_fixed_size 0
		.amdhsa_kernarg_size 272
		.amdhsa_user_sgpr_count 15
		.amdhsa_user_sgpr_dispatch_ptr 0
		.amdhsa_user_sgpr_queue_ptr 0
		.amdhsa_user_sgpr_kernarg_segment_ptr 1
		.amdhsa_user_sgpr_dispatch_id 0
		.amdhsa_user_sgpr_private_segment_size 0
		.amdhsa_wavefront_size32 1
		.amdhsa_uses_dynamic_stack 0
		.amdhsa_enable_private_segment 0
		.amdhsa_system_sgpr_workgroup_id_x 1
		.amdhsa_system_sgpr_workgroup_id_y 0
		.amdhsa_system_sgpr_workgroup_id_z 0
		.amdhsa_system_sgpr_workgroup_info 0
		.amdhsa_system_vgpr_workitem_id 0
		.amdhsa_next_free_vgpr 26
		.amdhsa_next_free_sgpr 16
		.amdhsa_reserve_vcc 1
		.amdhsa_float_round_mode_32 0
		.amdhsa_float_round_mode_16_64 0
		.amdhsa_float_denorm_mode_32 3
		.amdhsa_float_denorm_mode_16_64 3
		.amdhsa_dx10_clamp 1
		.amdhsa_ieee_mode 1
		.amdhsa_fp16_overflow 0
		.amdhsa_workgroup_processor_mode 1
		.amdhsa_memory_ordered 1
		.amdhsa_forward_progress 0
		.amdhsa_shared_vgpr_count 0
		.amdhsa_exception_fp_ieee_invalid_op 0
		.amdhsa_exception_fp_denorm_src 0
		.amdhsa_exception_fp_ieee_div_zero 0
		.amdhsa_exception_fp_ieee_overflow 0
		.amdhsa_exception_fp_ieee_underflow 0
		.amdhsa_exception_fp_ieee_inexact 0
		.amdhsa_exception_int_div_zero 0
	.end_amdhsa_kernel
	.section	.text._Z6kernelI6reduceILN6hipcub20BlockReduceAlgorithmE1EEdLj256ELj3ELj100EEvPKT0_PS4_,"axG",@progbits,_Z6kernelI6reduceILN6hipcub20BlockReduceAlgorithmE1EEdLj256ELj3ELj100EEvPKT0_PS4_,comdat
.Lfunc_end121:
	.size	_Z6kernelI6reduceILN6hipcub20BlockReduceAlgorithmE1EEdLj256ELj3ELj100EEvPKT0_PS4_, .Lfunc_end121-_Z6kernelI6reduceILN6hipcub20BlockReduceAlgorithmE1EEdLj256ELj3ELj100EEvPKT0_PS4_
                                        ; -- End function
	.section	.AMDGPU.csdata,"",@progbits
; Kernel info:
; codeLenInByte = 640
; NumSgprs: 18
; NumVgprs: 26
; ScratchSize: 0
; MemoryBound: 0
; FloatMode: 240
; IeeeMode: 1
; LDSByteSize: 2048 bytes/workgroup (compile time only)
; SGPRBlocks: 2
; VGPRBlocks: 3
; NumSGPRsForWavesPerEU: 18
; NumVGPRsForWavesPerEU: 26
; Occupancy: 16
; WaveLimiterHint : 0
; COMPUTE_PGM_RSRC2:SCRATCH_EN: 0
; COMPUTE_PGM_RSRC2:USER_SGPR: 15
; COMPUTE_PGM_RSRC2:TRAP_HANDLER: 0
; COMPUTE_PGM_RSRC2:TGID_X_EN: 1
; COMPUTE_PGM_RSRC2:TGID_Y_EN: 0
; COMPUTE_PGM_RSRC2:TGID_Z_EN: 0
; COMPUTE_PGM_RSRC2:TIDIG_COMP_CNT: 0
	.section	.text._Z6kernelI6reduceILN6hipcub20BlockReduceAlgorithmE1EEdLj256ELj4ELj100EEvPKT0_PS4_,"axG",@progbits,_Z6kernelI6reduceILN6hipcub20BlockReduceAlgorithmE1EEdLj256ELj4ELj100EEvPKT0_PS4_,comdat
	.protected	_Z6kernelI6reduceILN6hipcub20BlockReduceAlgorithmE1EEdLj256ELj4ELj100EEvPKT0_PS4_ ; -- Begin function _Z6kernelI6reduceILN6hipcub20BlockReduceAlgorithmE1EEdLj256ELj4ELj100EEvPKT0_PS4_
	.globl	_Z6kernelI6reduceILN6hipcub20BlockReduceAlgorithmE1EEdLj256ELj4ELj100EEvPKT0_PS4_
	.p2align	8
	.type	_Z6kernelI6reduceILN6hipcub20BlockReduceAlgorithmE1EEdLj256ELj4ELj100EEvPKT0_PS4_,@function
_Z6kernelI6reduceILN6hipcub20BlockReduceAlgorithmE1EEdLj256ELj4ELj100EEvPKT0_PS4_: ; @_Z6kernelI6reduceILN6hipcub20BlockReduceAlgorithmE1EEdLj256ELj4ELj100EEvPKT0_PS4_
; %bb.0:
	s_clause 0x1
	s_load_b32 s5, s[0:1], 0x1c
	s_load_b128 s[0:3], s[0:1], 0x0
	v_dual_mov_b32 v2, 0 :: v_dual_lshlrev_b32 v9, 2, v0
	v_mul_u32_u24_e32 v11, 28, v0
	v_mov_b32_e32 v10, 0x7c
	s_mov_b32 s4, s15
	s_delay_alu instid0(VALU_DEP_2) | instskip(SKIP_2) | instid1(SALU_CYCLE_1)
	v_add_nc_u32_e32 v11, v9, v11
	s_waitcnt lgkmcnt(0)
	s_and_b32 s5, s5, 0xffff
	s_mul_i32 s5, s15, s5
	s_delay_alu instid0(SALU_CYCLE_1) | instskip(NEXT) | instid1(VALU_DEP_1)
	v_add_lshl_u32 v1, s5, v0, 2
	v_lshlrev_b64 v[1:2], 3, v[1:2]
	s_delay_alu instid0(VALU_DEP_1) | instskip(NEXT) | instid1(VALU_DEP_2)
	v_add_co_u32 v1, vcc_lo, s0, v1
	v_add_co_ci_u32_e32 v2, vcc_lo, s1, v2, vcc_lo
	s_movk_i32 s0, 0x64
	s_clause 0x1
	global_load_b128 v[5:8], v[1:2], off offset:16
	global_load_b128 v[1:4], v[1:2], off
.LBB122_1:                              ; =>This Inner Loop Header: Depth=1
	s_waitcnt vmcnt(0) lgkmcnt(0)
	v_add_f64 v[1:2], v[1:2], v[3:4]
	s_add_i32 s0, s0, -1
	s_delay_alu instid0(SALU_CYCLE_1) | instskip(NEXT) | instid1(VALU_DEP_1)
	s_cmp_eq_u32 s0, 0
	v_add_f64 v[1:2], v[5:6], v[1:2]
	s_delay_alu instid0(VALU_DEP_1)
	v_add_f64 v[1:2], v[7:8], v[1:2]
	ds_store_2addr_stride64_b32 v9, v1, v2 offset1:4
	s_waitcnt lgkmcnt(0)
	s_barrier
	buffer_gl0_inv
	ds_load_2addr_b64 v[12:15], v11 offset1:1
	ds_load_2addr_b64 v[16:19], v11 offset0:128 offset1:129
	ds_load_2addr_b64 v[20:23], v11 offset0:2 offset1:3
	;; [unrolled: 1-line block ×3, first 2 shown]
	s_waitcnt lgkmcnt(3)
	v_mov_b32_e32 v1, v12
	s_waitcnt lgkmcnt(2)
	v_mov_b32_e32 v2, v16
	v_mov_b32_e32 v16, v13
	s_waitcnt lgkmcnt(1)
	v_mov_b32_e32 v12, v20
	s_waitcnt lgkmcnt(0)
	v_dual_mov_b32 v13, v24 :: v_dual_mov_b32 v24, v21
	v_add_f64 v[1:2], v[1:2], v[16:17]
	v_mov_b32_e32 v17, v14
	s_delay_alu instid0(VALU_DEP_1) | instskip(SKIP_1) | instid1(VALU_DEP_1)
	v_add_f64 v[1:2], v[1:2], v[17:18]
	v_mov_b32_e32 v18, v15
	v_add_f64 v[1:2], v[1:2], v[18:19]
	s_delay_alu instid0(VALU_DEP_1) | instskip(NEXT) | instid1(VALU_DEP_1)
	v_add_f64 v[1:2], v[1:2], v[12:13]
	v_add_f64 v[1:2], v[1:2], v[24:25]
	v_mov_b32_e32 v25, v22
	s_delay_alu instid0(VALU_DEP_1) | instskip(SKIP_1) | instid1(VALU_DEP_1)
	v_add_f64 v[1:2], v[1:2], v[25:26]
	v_mov_b32_e32 v26, v23
	v_add_f64 v[1:2], v[1:2], v[26:27]
	s_delay_alu instid0(VALU_DEP_1) | instskip(NEXT) | instid1(VALU_DEP_2)
	v_mov_b32_dpp v12, v1 quad_perm:[1,0,3,2] row_mask:0xf bank_mask:0xf
	v_mov_b32_dpp v13, v2 quad_perm:[1,0,3,2] row_mask:0xf bank_mask:0xf
	s_delay_alu instid0(VALU_DEP_1) | instskip(NEXT) | instid1(VALU_DEP_1)
	v_add_f64 v[1:2], v[1:2], v[12:13]
	v_mov_b32_dpp v12, v1 quad_perm:[2,3,0,1] row_mask:0xf bank_mask:0xf
	s_delay_alu instid0(VALU_DEP_2) | instskip(NEXT) | instid1(VALU_DEP_1)
	v_mov_b32_dpp v13, v2 quad_perm:[2,3,0,1] row_mask:0xf bank_mask:0xf
	v_add_f64 v[1:2], v[1:2], v[12:13]
	s_delay_alu instid0(VALU_DEP_1) | instskip(NEXT) | instid1(VALU_DEP_2)
	v_mov_b32_dpp v12, v1 row_ror:4 row_mask:0xf bank_mask:0xf
	v_mov_b32_dpp v13, v2 row_ror:4 row_mask:0xf bank_mask:0xf
	s_delay_alu instid0(VALU_DEP_1) | instskip(NEXT) | instid1(VALU_DEP_1)
	v_add_f64 v[1:2], v[1:2], v[12:13]
	v_mov_b32_dpp v12, v1 row_ror:8 row_mask:0xf bank_mask:0xf
	s_delay_alu instid0(VALU_DEP_2) | instskip(NEXT) | instid1(VALU_DEP_1)
	v_mov_b32_dpp v13, v2 row_ror:8 row_mask:0xf bank_mask:0xf
	v_add_f64 v[1:2], v[1:2], v[12:13]
	ds_swizzle_b32 v12, v1 offset:swizzle(BROADCAST,32,15)
	ds_swizzle_b32 v13, v2 offset:swizzle(BROADCAST,32,15)
	s_waitcnt lgkmcnt(0)
	v_add_f64 v[1:2], v[1:2], v[12:13]
	ds_bpermute_b32 v1, v10, v1
	ds_bpermute_b32 v2, v10, v2
	s_cbranch_scc0 .LBB122_1
; %bb.2:
	s_mov_b32 s5, 0
	s_mov_b32 s0, exec_lo
	v_cmpx_eq_u32_e32 0, v0
	s_cbranch_execz .LBB122_4
; %bb.3:
	s_lshl_b64 s[0:1], s[4:5], 3
	v_mov_b32_e32 v0, 0
	s_add_u32 s0, s2, s0
	s_addc_u32 s1, s3, s1
	s_waitcnt lgkmcnt(0)
	global_store_b64 v0, v[1:2], s[0:1]
.LBB122_4:
	s_nop 0
	s_sendmsg sendmsg(MSG_DEALLOC_VGPRS)
	s_endpgm
	.section	.rodata,"a",@progbits
	.p2align	6, 0x0
	.amdhsa_kernel _Z6kernelI6reduceILN6hipcub20BlockReduceAlgorithmE1EEdLj256ELj4ELj100EEvPKT0_PS4_
		.amdhsa_group_segment_fixed_size 2048
		.amdhsa_private_segment_fixed_size 0
		.amdhsa_kernarg_size 272
		.amdhsa_user_sgpr_count 15
		.amdhsa_user_sgpr_dispatch_ptr 0
		.amdhsa_user_sgpr_queue_ptr 0
		.amdhsa_user_sgpr_kernarg_segment_ptr 1
		.amdhsa_user_sgpr_dispatch_id 0
		.amdhsa_user_sgpr_private_segment_size 0
		.amdhsa_wavefront_size32 1
		.amdhsa_uses_dynamic_stack 0
		.amdhsa_enable_private_segment 0
		.amdhsa_system_sgpr_workgroup_id_x 1
		.amdhsa_system_sgpr_workgroup_id_y 0
		.amdhsa_system_sgpr_workgroup_id_z 0
		.amdhsa_system_sgpr_workgroup_info 0
		.amdhsa_system_vgpr_workitem_id 0
		.amdhsa_next_free_vgpr 28
		.amdhsa_next_free_sgpr 16
		.amdhsa_reserve_vcc 1
		.amdhsa_float_round_mode_32 0
		.amdhsa_float_round_mode_16_64 0
		.amdhsa_float_denorm_mode_32 3
		.amdhsa_float_denorm_mode_16_64 3
		.amdhsa_dx10_clamp 1
		.amdhsa_ieee_mode 1
		.amdhsa_fp16_overflow 0
		.amdhsa_workgroup_processor_mode 1
		.amdhsa_memory_ordered 1
		.amdhsa_forward_progress 0
		.amdhsa_shared_vgpr_count 0
		.amdhsa_exception_fp_ieee_invalid_op 0
		.amdhsa_exception_fp_denorm_src 0
		.amdhsa_exception_fp_ieee_div_zero 0
		.amdhsa_exception_fp_ieee_overflow 0
		.amdhsa_exception_fp_ieee_underflow 0
		.amdhsa_exception_fp_ieee_inexact 0
		.amdhsa_exception_int_div_zero 0
	.end_amdhsa_kernel
	.section	.text._Z6kernelI6reduceILN6hipcub20BlockReduceAlgorithmE1EEdLj256ELj4ELj100EEvPKT0_PS4_,"axG",@progbits,_Z6kernelI6reduceILN6hipcub20BlockReduceAlgorithmE1EEdLj256ELj4ELj100EEvPKT0_PS4_,comdat
.Lfunc_end122:
	.size	_Z6kernelI6reduceILN6hipcub20BlockReduceAlgorithmE1EEdLj256ELj4ELj100EEvPKT0_PS4_, .Lfunc_end122-_Z6kernelI6reduceILN6hipcub20BlockReduceAlgorithmE1EEdLj256ELj4ELj100EEvPKT0_PS4_
                                        ; -- End function
	.section	.AMDGPU.csdata,"",@progbits
; Kernel info:
; codeLenInByte = 576
; NumSgprs: 18
; NumVgprs: 28
; ScratchSize: 0
; MemoryBound: 0
; FloatMode: 240
; IeeeMode: 1
; LDSByteSize: 2048 bytes/workgroup (compile time only)
; SGPRBlocks: 2
; VGPRBlocks: 3
; NumSGPRsForWavesPerEU: 18
; NumVGPRsForWavesPerEU: 28
; Occupancy: 16
; WaveLimiterHint : 0
; COMPUTE_PGM_RSRC2:SCRATCH_EN: 0
; COMPUTE_PGM_RSRC2:USER_SGPR: 15
; COMPUTE_PGM_RSRC2:TRAP_HANDLER: 0
; COMPUTE_PGM_RSRC2:TGID_X_EN: 1
; COMPUTE_PGM_RSRC2:TGID_Y_EN: 0
; COMPUTE_PGM_RSRC2:TGID_Z_EN: 0
; COMPUTE_PGM_RSRC2:TIDIG_COMP_CNT: 0
	.section	.text._Z6kernelI6reduceILN6hipcub20BlockReduceAlgorithmE1EEdLj256ELj8ELj100EEvPKT0_PS4_,"axG",@progbits,_Z6kernelI6reduceILN6hipcub20BlockReduceAlgorithmE1EEdLj256ELj8ELj100EEvPKT0_PS4_,comdat
	.protected	_Z6kernelI6reduceILN6hipcub20BlockReduceAlgorithmE1EEdLj256ELj8ELj100EEvPKT0_PS4_ ; -- Begin function _Z6kernelI6reduceILN6hipcub20BlockReduceAlgorithmE1EEdLj256ELj8ELj100EEvPKT0_PS4_
	.globl	_Z6kernelI6reduceILN6hipcub20BlockReduceAlgorithmE1EEdLj256ELj8ELj100EEvPKT0_PS4_
	.p2align	8
	.type	_Z6kernelI6reduceILN6hipcub20BlockReduceAlgorithmE1EEdLj256ELj8ELj100EEvPKT0_PS4_,@function
_Z6kernelI6reduceILN6hipcub20BlockReduceAlgorithmE1EEdLj256ELj8ELj100EEvPKT0_PS4_: ; @_Z6kernelI6reduceILN6hipcub20BlockReduceAlgorithmE1EEdLj256ELj8ELj100EEvPKT0_PS4_
; %bb.0:
	s_clause 0x1
	s_load_b32 s5, s[0:1], 0x1c
	s_load_b128 s[0:3], s[0:1], 0x0
	v_dual_mov_b32 v2, 0 :: v_dual_lshlrev_b32 v17, 2, v0
	v_mul_u32_u24_e32 v19, 28, v0
	v_mov_b32_e32 v18, 0x7c
	s_mov_b32 s4, s15
	s_delay_alu instid0(VALU_DEP_2) | instskip(SKIP_2) | instid1(SALU_CYCLE_1)
	v_add_nc_u32_e32 v19, v17, v19
	s_waitcnt lgkmcnt(0)
	s_and_b32 s5, s5, 0xffff
	s_mul_i32 s5, s15, s5
	s_delay_alu instid0(SALU_CYCLE_1) | instskip(NEXT) | instid1(VALU_DEP_1)
	v_add_lshl_u32 v1, s5, v0, 3
	v_lshlrev_b64 v[1:2], 3, v[1:2]
	s_delay_alu instid0(VALU_DEP_1) | instskip(NEXT) | instid1(VALU_DEP_2)
	v_add_co_u32 v1, vcc_lo, s0, v1
	v_add_co_ci_u32_e32 v2, vcc_lo, s1, v2, vcc_lo
	s_movk_i32 s0, 0x64
	s_clause 0x3
	global_load_b128 v[5:8], v[1:2], off offset:48
	global_load_b128 v[9:12], v[1:2], off offset:32
	;; [unrolled: 1-line block ×3, first 2 shown]
	global_load_b128 v[1:4], v[1:2], off
.LBB123_1:                              ; =>This Inner Loop Header: Depth=1
	s_waitcnt vmcnt(0) lgkmcnt(0)
	v_add_f64 v[1:2], v[3:4], v[1:2]
	s_add_i32 s0, s0, -1
	s_delay_alu instid0(SALU_CYCLE_1) | instskip(NEXT) | instid1(VALU_DEP_1)
	s_cmp_eq_u32 s0, 0
	v_add_f64 v[1:2], v[13:14], v[1:2]
	s_delay_alu instid0(VALU_DEP_1) | instskip(NEXT) | instid1(VALU_DEP_1)
	v_add_f64 v[1:2], v[15:16], v[1:2]
	v_add_f64 v[1:2], v[9:10], v[1:2]
	s_delay_alu instid0(VALU_DEP_1) | instskip(NEXT) | instid1(VALU_DEP_1)
	v_add_f64 v[1:2], v[11:12], v[1:2]
	v_add_f64 v[1:2], v[5:6], v[1:2]
	s_delay_alu instid0(VALU_DEP_1)
	v_add_f64 v[1:2], v[7:8], v[1:2]
	ds_store_2addr_stride64_b32 v17, v1, v2 offset1:4
	s_waitcnt lgkmcnt(0)
	s_barrier
	buffer_gl0_inv
	ds_load_2addr_b64 v[20:23], v19 offset1:1
	ds_load_2addr_b64 v[24:27], v19 offset0:128 offset1:129
	ds_load_2addr_b64 v[28:31], v19 offset0:2 offset1:3
	;; [unrolled: 1-line block ×3, first 2 shown]
	s_waitcnt lgkmcnt(3)
	v_mov_b32_e32 v1, v20
	s_waitcnt lgkmcnt(2)
	v_mov_b32_e32 v2, v24
	v_mov_b32_e32 v24, v21
	s_waitcnt lgkmcnt(1)
	v_mov_b32_e32 v20, v28
	s_waitcnt lgkmcnt(0)
	v_dual_mov_b32 v21, v32 :: v_dual_mov_b32 v32, v29
	v_add_f64 v[1:2], v[1:2], v[24:25]
	v_mov_b32_e32 v25, v22
	s_delay_alu instid0(VALU_DEP_1) | instskip(SKIP_1) | instid1(VALU_DEP_1)
	v_add_f64 v[1:2], v[1:2], v[25:26]
	v_mov_b32_e32 v26, v23
	v_add_f64 v[1:2], v[1:2], v[26:27]
	s_delay_alu instid0(VALU_DEP_1) | instskip(NEXT) | instid1(VALU_DEP_1)
	v_add_f64 v[1:2], v[1:2], v[20:21]
	v_add_f64 v[1:2], v[1:2], v[32:33]
	v_mov_b32_e32 v33, v30
	s_delay_alu instid0(VALU_DEP_1) | instskip(SKIP_1) | instid1(VALU_DEP_1)
	v_add_f64 v[1:2], v[1:2], v[33:34]
	v_mov_b32_e32 v34, v31
	v_add_f64 v[1:2], v[1:2], v[34:35]
	s_delay_alu instid0(VALU_DEP_1) | instskip(NEXT) | instid1(VALU_DEP_2)
	v_mov_b32_dpp v20, v1 quad_perm:[1,0,3,2] row_mask:0xf bank_mask:0xf
	v_mov_b32_dpp v21, v2 quad_perm:[1,0,3,2] row_mask:0xf bank_mask:0xf
	s_delay_alu instid0(VALU_DEP_1) | instskip(NEXT) | instid1(VALU_DEP_1)
	v_add_f64 v[1:2], v[1:2], v[20:21]
	v_mov_b32_dpp v20, v1 quad_perm:[2,3,0,1] row_mask:0xf bank_mask:0xf
	s_delay_alu instid0(VALU_DEP_2) | instskip(NEXT) | instid1(VALU_DEP_1)
	v_mov_b32_dpp v21, v2 quad_perm:[2,3,0,1] row_mask:0xf bank_mask:0xf
	v_add_f64 v[1:2], v[1:2], v[20:21]
	s_delay_alu instid0(VALU_DEP_1) | instskip(NEXT) | instid1(VALU_DEP_2)
	v_mov_b32_dpp v20, v1 row_ror:4 row_mask:0xf bank_mask:0xf
	v_mov_b32_dpp v21, v2 row_ror:4 row_mask:0xf bank_mask:0xf
	s_delay_alu instid0(VALU_DEP_1) | instskip(NEXT) | instid1(VALU_DEP_1)
	v_add_f64 v[1:2], v[1:2], v[20:21]
	v_mov_b32_dpp v20, v1 row_ror:8 row_mask:0xf bank_mask:0xf
	s_delay_alu instid0(VALU_DEP_2) | instskip(NEXT) | instid1(VALU_DEP_1)
	v_mov_b32_dpp v21, v2 row_ror:8 row_mask:0xf bank_mask:0xf
	v_add_f64 v[1:2], v[1:2], v[20:21]
	ds_swizzle_b32 v20, v1 offset:swizzle(BROADCAST,32,15)
	ds_swizzle_b32 v21, v2 offset:swizzle(BROADCAST,32,15)
	s_waitcnt lgkmcnt(0)
	v_add_f64 v[1:2], v[1:2], v[20:21]
	ds_bpermute_b32 v1, v18, v1
	ds_bpermute_b32 v2, v18, v2
	s_cbranch_scc0 .LBB123_1
; %bb.2:
	s_mov_b32 s5, 0
	s_mov_b32 s0, exec_lo
	v_cmpx_eq_u32_e32 0, v0
	s_cbranch_execz .LBB123_4
; %bb.3:
	s_lshl_b64 s[0:1], s[4:5], 3
	v_mov_b32_e32 v0, 0
	s_add_u32 s0, s2, s0
	s_addc_u32 s1, s3, s1
	s_waitcnt lgkmcnt(0)
	global_store_b64 v0, v[1:2], s[0:1]
.LBB123_4:
	s_nop 0
	s_sendmsg sendmsg(MSG_DEALLOC_VGPRS)
	s_endpgm
	.section	.rodata,"a",@progbits
	.p2align	6, 0x0
	.amdhsa_kernel _Z6kernelI6reduceILN6hipcub20BlockReduceAlgorithmE1EEdLj256ELj8ELj100EEvPKT0_PS4_
		.amdhsa_group_segment_fixed_size 2048
		.amdhsa_private_segment_fixed_size 0
		.amdhsa_kernarg_size 272
		.amdhsa_user_sgpr_count 15
		.amdhsa_user_sgpr_dispatch_ptr 0
		.amdhsa_user_sgpr_queue_ptr 0
		.amdhsa_user_sgpr_kernarg_segment_ptr 1
		.amdhsa_user_sgpr_dispatch_id 0
		.amdhsa_user_sgpr_private_segment_size 0
		.amdhsa_wavefront_size32 1
		.amdhsa_uses_dynamic_stack 0
		.amdhsa_enable_private_segment 0
		.amdhsa_system_sgpr_workgroup_id_x 1
		.amdhsa_system_sgpr_workgroup_id_y 0
		.amdhsa_system_sgpr_workgroup_id_z 0
		.amdhsa_system_sgpr_workgroup_info 0
		.amdhsa_system_vgpr_workitem_id 0
		.amdhsa_next_free_vgpr 36
		.amdhsa_next_free_sgpr 16
		.amdhsa_reserve_vcc 1
		.amdhsa_float_round_mode_32 0
		.amdhsa_float_round_mode_16_64 0
		.amdhsa_float_denorm_mode_32 3
		.amdhsa_float_denorm_mode_16_64 3
		.amdhsa_dx10_clamp 1
		.amdhsa_ieee_mode 1
		.amdhsa_fp16_overflow 0
		.amdhsa_workgroup_processor_mode 1
		.amdhsa_memory_ordered 1
		.amdhsa_forward_progress 0
		.amdhsa_shared_vgpr_count 0
		.amdhsa_exception_fp_ieee_invalid_op 0
		.amdhsa_exception_fp_denorm_src 0
		.amdhsa_exception_fp_ieee_div_zero 0
		.amdhsa_exception_fp_ieee_overflow 0
		.amdhsa_exception_fp_ieee_underflow 0
		.amdhsa_exception_fp_ieee_inexact 0
		.amdhsa_exception_int_div_zero 0
	.end_amdhsa_kernel
	.section	.text._Z6kernelI6reduceILN6hipcub20BlockReduceAlgorithmE1EEdLj256ELj8ELj100EEvPKT0_PS4_,"axG",@progbits,_Z6kernelI6reduceILN6hipcub20BlockReduceAlgorithmE1EEdLj256ELj8ELj100EEvPKT0_PS4_,comdat
.Lfunc_end123:
	.size	_Z6kernelI6reduceILN6hipcub20BlockReduceAlgorithmE1EEdLj256ELj8ELj100EEvPKT0_PS4_, .Lfunc_end123-_Z6kernelI6reduceILN6hipcub20BlockReduceAlgorithmE1EEdLj256ELj8ELj100EEvPKT0_PS4_
                                        ; -- End function
	.section	.AMDGPU.csdata,"",@progbits
; Kernel info:
; codeLenInByte = 632
; NumSgprs: 18
; NumVgprs: 36
; ScratchSize: 0
; MemoryBound: 1
; FloatMode: 240
; IeeeMode: 1
; LDSByteSize: 2048 bytes/workgroup (compile time only)
; SGPRBlocks: 2
; VGPRBlocks: 4
; NumSGPRsForWavesPerEU: 18
; NumVGPRsForWavesPerEU: 36
; Occupancy: 16
; WaveLimiterHint : 0
; COMPUTE_PGM_RSRC2:SCRATCH_EN: 0
; COMPUTE_PGM_RSRC2:USER_SGPR: 15
; COMPUTE_PGM_RSRC2:TRAP_HANDLER: 0
; COMPUTE_PGM_RSRC2:TGID_X_EN: 1
; COMPUTE_PGM_RSRC2:TGID_Y_EN: 0
; COMPUTE_PGM_RSRC2:TGID_Z_EN: 0
; COMPUTE_PGM_RSRC2:TIDIG_COMP_CNT: 0
	.section	.text._Z6kernelI6reduceILN6hipcub20BlockReduceAlgorithmE1EEdLj256ELj11ELj100EEvPKT0_PS4_,"axG",@progbits,_Z6kernelI6reduceILN6hipcub20BlockReduceAlgorithmE1EEdLj256ELj11ELj100EEvPKT0_PS4_,comdat
	.protected	_Z6kernelI6reduceILN6hipcub20BlockReduceAlgorithmE1EEdLj256ELj11ELj100EEvPKT0_PS4_ ; -- Begin function _Z6kernelI6reduceILN6hipcub20BlockReduceAlgorithmE1EEdLj256ELj11ELj100EEvPKT0_PS4_
	.globl	_Z6kernelI6reduceILN6hipcub20BlockReduceAlgorithmE1EEdLj256ELj11ELj100EEvPKT0_PS4_
	.p2align	8
	.type	_Z6kernelI6reduceILN6hipcub20BlockReduceAlgorithmE1EEdLj256ELj11ELj100EEvPKT0_PS4_,@function
_Z6kernelI6reduceILN6hipcub20BlockReduceAlgorithmE1EEdLj256ELj11ELj100EEvPKT0_PS4_: ; @_Z6kernelI6reduceILN6hipcub20BlockReduceAlgorithmE1EEdLj256ELj11ELj100EEvPKT0_PS4_
; %bb.0:
	s_load_b32 s2, s[0:1], 0x1c
	s_mov_b32 s4, s15
	v_mul_u32_u24_e32 v25, 28, v0
	s_waitcnt lgkmcnt(0)
	s_and_b32 s2, s2, 0xffff
	s_delay_alu instid0(SALU_CYCLE_1) | instskip(SKIP_1) | instid1(VALU_DEP_1)
	v_mad_u64_u32 v[1:2], null, s4, s2, v[0:1]
	s_load_b128 s[0:3], s[0:1], 0x0
	v_mul_lo_u32 v7, v1, 11
	s_delay_alu instid0(VALU_DEP_1) | instskip(NEXT) | instid1(VALU_DEP_1)
	v_dual_mov_b32 v8, 0 :: v_dual_add_nc_u32 v1, 1, v7
	v_dual_mov_b32 v2, v8 :: v_dual_add_nc_u32 v3, 2, v7
	v_lshlrev_b64 v[17:18], 3, v[7:8]
	v_dual_mov_b32 v4, v8 :: v_dual_add_nc_u32 v5, 3, v7
	s_delay_alu instid0(VALU_DEP_3) | instskip(SKIP_1) | instid1(VALU_DEP_3)
	v_lshlrev_b64 v[1:2], 3, v[1:2]
	v_dual_mov_b32 v6, v8 :: v_dual_add_nc_u32 v9, 4, v7
	v_lshlrev_b64 v[3:4], 3, v[3:4]
	s_waitcnt lgkmcnt(0)
	v_add_co_u32 v17, vcc_lo, s0, v17
	v_dual_mov_b32 v10, v8 :: v_dual_add_nc_u32 v11, 5, v7
	v_add_co_ci_u32_e32 v18, vcc_lo, s1, v18, vcc_lo
	v_lshlrev_b64 v[5:6], 3, v[5:6]
	v_add_co_u32 v1, vcc_lo, s0, v1
	v_dual_mov_b32 v12, v8 :: v_dual_add_nc_u32 v13, 6, v7
	v_add_co_ci_u32_e32 v2, vcc_lo, s1, v2, vcc_lo
	v_lshlrev_b64 v[9:10], 3, v[9:10]
	;; [unrolled: 4-line block ×3, first 2 shown]
	v_add_co_u32 v5, vcc_lo, s0, v5
	v_mov_b32_e32 v16, v8
	v_add_co_ci_u32_e32 v6, vcc_lo, s1, v6, vcc_lo
	v_lshlrev_b64 v[13:14], 3, v[13:14]
	v_add_co_u32 v9, vcc_lo, s0, v9
	s_clause 0x3
	global_load_b64 v[21:22], v[17:18], off
	global_load_b64 v[1:2], v[1:2], off
	;; [unrolled: 1-line block ×4, first 2 shown]
	v_dual_mov_b32 v18, v8 :: v_dual_add_nc_u32 v17, 8, v7
	v_add_nc_u32_e32 v19, 9, v7
	v_add_co_ci_u32_e32 v10, vcc_lo, s1, v10, vcc_lo
	v_add_co_u32 v11, vcc_lo, s0, v11
	v_lshlrev_b64 v[15:16], 3, v[15:16]
	v_dual_mov_b32 v20, v8 :: v_dual_add_nc_u32 v7, 10, v7
	v_add_co_ci_u32_e32 v12, vcc_lo, s1, v12, vcc_lo
	v_add_co_u32 v13, vcc_lo, s0, v13
	v_lshlrev_b64 v[17:18], 3, v[17:18]
	v_add_co_ci_u32_e32 v14, vcc_lo, s1, v14, vcc_lo
	v_add_co_u32 v15, vcc_lo, s0, v15
	v_lshlrev_b64 v[19:20], 3, v[19:20]
	;; [unrolled: 3-line block ×3, first 2 shown]
	v_add_co_ci_u32_e32 v18, vcc_lo, s1, v18, vcc_lo
	v_add_co_u32 v19, vcc_lo, s0, v19
	v_add_co_ci_u32_e32 v20, vcc_lo, s1, v20, vcc_lo
	s_delay_alu instid0(VALU_DEP_4)
	v_add_co_u32 v23, vcc_lo, s0, v7
	v_add_co_ci_u32_e32 v24, vcc_lo, s1, v8, vcc_lo
	s_clause 0x6
	global_load_b64 v[7:8], v[9:10], off
	global_load_b64 v[9:10], v[11:12], off
	;; [unrolled: 1-line block ×7, first 2 shown]
	v_dual_mov_b32 v24, 0x7c :: v_dual_lshlrev_b32 v23, 2, v0
	s_movk_i32 s0, 0x64
	s_delay_alu instid0(VALU_DEP_1)
	v_add_nc_u32_e32 v25, v23, v25
.LBB124_1:                              ; =>This Inner Loop Header: Depth=1
	s_waitcnt vmcnt(9) lgkmcnt(0)
	v_add_f64 v[21:22], v[1:2], v[21:22]
	s_add_i32 s0, s0, -1
	s_delay_alu instid0(SALU_CYCLE_1) | instskip(SKIP_1) | instid1(VALU_DEP_1)
	s_cmp_eq_u32 s0, 0
	s_waitcnt vmcnt(8)
	v_add_f64 v[21:22], v[3:4], v[21:22]
	s_waitcnt vmcnt(7)
	s_delay_alu instid0(VALU_DEP_1) | instskip(SKIP_1) | instid1(VALU_DEP_1)
	v_add_f64 v[21:22], v[5:6], v[21:22]
	s_waitcnt vmcnt(6)
	v_add_f64 v[21:22], v[7:8], v[21:22]
	s_waitcnt vmcnt(5)
	s_delay_alu instid0(VALU_DEP_1) | instskip(SKIP_1) | instid1(VALU_DEP_1)
	v_add_f64 v[21:22], v[9:10], v[21:22]
	;; [unrolled: 5-line block ×4, first 2 shown]
	s_waitcnt vmcnt(0)
	v_add_f64 v[21:22], v[19:20], v[21:22]
	ds_store_2addr_stride64_b32 v23, v21, v22 offset1:4
	s_waitcnt lgkmcnt(0)
	s_barrier
	buffer_gl0_inv
	ds_load_2addr_b64 v[26:29], v25 offset1:1
	ds_load_2addr_b64 v[30:33], v25 offset0:128 offset1:129
	ds_load_2addr_b64 v[34:37], v25 offset0:2 offset1:3
	;; [unrolled: 1-line block ×3, first 2 shown]
	s_waitcnt lgkmcnt(3)
	v_mov_b32_e32 v21, v26
	s_waitcnt lgkmcnt(2)
	v_mov_b32_e32 v22, v30
	v_mov_b32_e32 v30, v27
	s_waitcnt lgkmcnt(1)
	v_mov_b32_e32 v26, v34
	s_waitcnt lgkmcnt(0)
	v_dual_mov_b32 v27, v38 :: v_dual_mov_b32 v38, v35
	v_add_f64 v[21:22], v[21:22], v[30:31]
	v_mov_b32_e32 v31, v28
	s_delay_alu instid0(VALU_DEP_1) | instskip(SKIP_1) | instid1(VALU_DEP_1)
	v_add_f64 v[21:22], v[21:22], v[31:32]
	v_mov_b32_e32 v32, v29
	v_add_f64 v[21:22], v[21:22], v[32:33]
	s_delay_alu instid0(VALU_DEP_1) | instskip(NEXT) | instid1(VALU_DEP_1)
	v_add_f64 v[21:22], v[21:22], v[26:27]
	v_add_f64 v[21:22], v[21:22], v[38:39]
	v_mov_b32_e32 v39, v36
	s_delay_alu instid0(VALU_DEP_1) | instskip(SKIP_1) | instid1(VALU_DEP_1)
	v_add_f64 v[21:22], v[21:22], v[39:40]
	v_mov_b32_e32 v40, v37
	v_add_f64 v[21:22], v[21:22], v[40:41]
	s_delay_alu instid0(VALU_DEP_1) | instskip(NEXT) | instid1(VALU_DEP_2)
	v_mov_b32_dpp v26, v21 quad_perm:[1,0,3,2] row_mask:0xf bank_mask:0xf
	v_mov_b32_dpp v27, v22 quad_perm:[1,0,3,2] row_mask:0xf bank_mask:0xf
	s_delay_alu instid0(VALU_DEP_1) | instskip(NEXT) | instid1(VALU_DEP_1)
	v_add_f64 v[21:22], v[21:22], v[26:27]
	v_mov_b32_dpp v26, v21 quad_perm:[2,3,0,1] row_mask:0xf bank_mask:0xf
	s_delay_alu instid0(VALU_DEP_2) | instskip(NEXT) | instid1(VALU_DEP_1)
	v_mov_b32_dpp v27, v22 quad_perm:[2,3,0,1] row_mask:0xf bank_mask:0xf
	v_add_f64 v[21:22], v[21:22], v[26:27]
	s_delay_alu instid0(VALU_DEP_1) | instskip(NEXT) | instid1(VALU_DEP_2)
	v_mov_b32_dpp v26, v21 row_ror:4 row_mask:0xf bank_mask:0xf
	v_mov_b32_dpp v27, v22 row_ror:4 row_mask:0xf bank_mask:0xf
	s_delay_alu instid0(VALU_DEP_1) | instskip(NEXT) | instid1(VALU_DEP_1)
	v_add_f64 v[21:22], v[21:22], v[26:27]
	v_mov_b32_dpp v26, v21 row_ror:8 row_mask:0xf bank_mask:0xf
	s_delay_alu instid0(VALU_DEP_2) | instskip(NEXT) | instid1(VALU_DEP_1)
	v_mov_b32_dpp v27, v22 row_ror:8 row_mask:0xf bank_mask:0xf
	v_add_f64 v[21:22], v[21:22], v[26:27]
	ds_swizzle_b32 v26, v21 offset:swizzle(BROADCAST,32,15)
	ds_swizzle_b32 v27, v22 offset:swizzle(BROADCAST,32,15)
	s_waitcnt lgkmcnt(0)
	v_add_f64 v[21:22], v[21:22], v[26:27]
	ds_bpermute_b32 v21, v24, v21
	ds_bpermute_b32 v22, v24, v22
	s_cbranch_scc0 .LBB124_1
; %bb.2:
	s_mov_b32 s5, 0
	s_mov_b32 s0, exec_lo
	v_cmpx_eq_u32_e32 0, v0
	s_cbranch_execz .LBB124_4
; %bb.3:
	s_lshl_b64 s[0:1], s[4:5], 3
	v_mov_b32_e32 v0, 0
	s_add_u32 s0, s2, s0
	s_addc_u32 s1, s3, s1
	s_waitcnt lgkmcnt(0)
	global_store_b64 v0, v[21:22], s[0:1]
.LBB124_4:
	s_nop 0
	s_sendmsg sendmsg(MSG_DEALLOC_VGPRS)
	s_endpgm
	.section	.rodata,"a",@progbits
	.p2align	6, 0x0
	.amdhsa_kernel _Z6kernelI6reduceILN6hipcub20BlockReduceAlgorithmE1EEdLj256ELj11ELj100EEvPKT0_PS4_
		.amdhsa_group_segment_fixed_size 2048
		.amdhsa_private_segment_fixed_size 0
		.amdhsa_kernarg_size 272
		.amdhsa_user_sgpr_count 15
		.amdhsa_user_sgpr_dispatch_ptr 0
		.amdhsa_user_sgpr_queue_ptr 0
		.amdhsa_user_sgpr_kernarg_segment_ptr 1
		.amdhsa_user_sgpr_dispatch_id 0
		.amdhsa_user_sgpr_private_segment_size 0
		.amdhsa_wavefront_size32 1
		.amdhsa_uses_dynamic_stack 0
		.amdhsa_enable_private_segment 0
		.amdhsa_system_sgpr_workgroup_id_x 1
		.amdhsa_system_sgpr_workgroup_id_y 0
		.amdhsa_system_sgpr_workgroup_id_z 0
		.amdhsa_system_sgpr_workgroup_info 0
		.amdhsa_system_vgpr_workitem_id 0
		.amdhsa_next_free_vgpr 42
		.amdhsa_next_free_sgpr 16
		.amdhsa_reserve_vcc 1
		.amdhsa_float_round_mode_32 0
		.amdhsa_float_round_mode_16_64 0
		.amdhsa_float_denorm_mode_32 3
		.amdhsa_float_denorm_mode_16_64 3
		.amdhsa_dx10_clamp 1
		.amdhsa_ieee_mode 1
		.amdhsa_fp16_overflow 0
		.amdhsa_workgroup_processor_mode 1
		.amdhsa_memory_ordered 1
		.amdhsa_forward_progress 0
		.amdhsa_shared_vgpr_count 0
		.amdhsa_exception_fp_ieee_invalid_op 0
		.amdhsa_exception_fp_denorm_src 0
		.amdhsa_exception_fp_ieee_div_zero 0
		.amdhsa_exception_fp_ieee_overflow 0
		.amdhsa_exception_fp_ieee_underflow 0
		.amdhsa_exception_fp_ieee_inexact 0
		.amdhsa_exception_int_div_zero 0
	.end_amdhsa_kernel
	.section	.text._Z6kernelI6reduceILN6hipcub20BlockReduceAlgorithmE1EEdLj256ELj11ELj100EEvPKT0_PS4_,"axG",@progbits,_Z6kernelI6reduceILN6hipcub20BlockReduceAlgorithmE1EEdLj256ELj11ELj100EEvPKT0_PS4_,comdat
.Lfunc_end124:
	.size	_Z6kernelI6reduceILN6hipcub20BlockReduceAlgorithmE1EEdLj256ELj11ELj100EEvPKT0_PS4_, .Lfunc_end124-_Z6kernelI6reduceILN6hipcub20BlockReduceAlgorithmE1EEdLj256ELj11ELj100EEvPKT0_PS4_
                                        ; -- End function
	.section	.AMDGPU.csdata,"",@progbits
; Kernel info:
; codeLenInByte = 1044
; NumSgprs: 18
; NumVgprs: 42
; ScratchSize: 0
; MemoryBound: 0
; FloatMode: 240
; IeeeMode: 1
; LDSByteSize: 2048 bytes/workgroup (compile time only)
; SGPRBlocks: 2
; VGPRBlocks: 5
; NumSGPRsForWavesPerEU: 18
; NumVGPRsForWavesPerEU: 42
; Occupancy: 16
; WaveLimiterHint : 0
; COMPUTE_PGM_RSRC2:SCRATCH_EN: 0
; COMPUTE_PGM_RSRC2:USER_SGPR: 15
; COMPUTE_PGM_RSRC2:TRAP_HANDLER: 0
; COMPUTE_PGM_RSRC2:TGID_X_EN: 1
; COMPUTE_PGM_RSRC2:TGID_Y_EN: 0
; COMPUTE_PGM_RSRC2:TGID_Z_EN: 0
; COMPUTE_PGM_RSRC2:TIDIG_COMP_CNT: 0
	.section	.text._Z6kernelI6reduceILN6hipcub20BlockReduceAlgorithmE1EEdLj256ELj16ELj100EEvPKT0_PS4_,"axG",@progbits,_Z6kernelI6reduceILN6hipcub20BlockReduceAlgorithmE1EEdLj256ELj16ELj100EEvPKT0_PS4_,comdat
	.protected	_Z6kernelI6reduceILN6hipcub20BlockReduceAlgorithmE1EEdLj256ELj16ELj100EEvPKT0_PS4_ ; -- Begin function _Z6kernelI6reduceILN6hipcub20BlockReduceAlgorithmE1EEdLj256ELj16ELj100EEvPKT0_PS4_
	.globl	_Z6kernelI6reduceILN6hipcub20BlockReduceAlgorithmE1EEdLj256ELj16ELj100EEvPKT0_PS4_
	.p2align	8
	.type	_Z6kernelI6reduceILN6hipcub20BlockReduceAlgorithmE1EEdLj256ELj16ELj100EEvPKT0_PS4_,@function
_Z6kernelI6reduceILN6hipcub20BlockReduceAlgorithmE1EEdLj256ELj16ELj100EEvPKT0_PS4_: ; @_Z6kernelI6reduceILN6hipcub20BlockReduceAlgorithmE1EEdLj256ELj16ELj100EEvPKT0_PS4_
; %bb.0:
	s_clause 0x1
	s_load_b32 s5, s[0:1], 0x1c
	s_load_b128 s[0:3], s[0:1], 0x0
	v_dual_mov_b32 v2, 0 :: v_dual_lshlrev_b32 v33, 2, v0
	v_mul_u32_u24_e32 v35, 28, v0
	v_mov_b32_e32 v34, 0x7c
	s_mov_b32 s4, s15
	s_delay_alu instid0(VALU_DEP_2) | instskip(SKIP_2) | instid1(SALU_CYCLE_1)
	v_add_nc_u32_e32 v35, v33, v35
	s_waitcnt lgkmcnt(0)
	s_and_b32 s5, s5, 0xffff
	s_mul_i32 s5, s15, s5
	s_delay_alu instid0(SALU_CYCLE_1) | instskip(NEXT) | instid1(VALU_DEP_1)
	v_add_lshl_u32 v1, s5, v0, 4
	v_lshlrev_b64 v[1:2], 3, v[1:2]
	s_delay_alu instid0(VALU_DEP_1) | instskip(NEXT) | instid1(VALU_DEP_2)
	v_add_co_u32 v29, vcc_lo, s0, v1
	v_add_co_ci_u32_e32 v30, vcc_lo, s1, v2, vcc_lo
	s_movk_i32 s0, 0x64
	s_clause 0x7
	global_load_b128 v[5:8], v[29:30], off offset:48
	global_load_b128 v[9:12], v[29:30], off offset:32
	;; [unrolled: 1-line block ×3, first 2 shown]
	global_load_b128 v[1:4], v[29:30], off
	global_load_b128 v[17:20], v[29:30], off offset:112
	global_load_b128 v[21:24], v[29:30], off offset:96
	;; [unrolled: 1-line block ×4, first 2 shown]
.LBB125_1:                              ; =>This Inner Loop Header: Depth=1
	s_waitcnt vmcnt(4) lgkmcnt(0)
	v_add_f64 v[1:2], v[3:4], v[1:2]
	s_add_i32 s0, s0, -1
	s_delay_alu instid0(SALU_CYCLE_1) | instskip(NEXT) | instid1(VALU_DEP_1)
	s_cmp_eq_u32 s0, 0
	v_add_f64 v[1:2], v[13:14], v[1:2]
	s_delay_alu instid0(VALU_DEP_1) | instskip(NEXT) | instid1(VALU_DEP_1)
	v_add_f64 v[1:2], v[15:16], v[1:2]
	v_add_f64 v[1:2], v[9:10], v[1:2]
	s_delay_alu instid0(VALU_DEP_1) | instskip(NEXT) | instid1(VALU_DEP_1)
	v_add_f64 v[1:2], v[11:12], v[1:2]
	v_add_f64 v[1:2], v[5:6], v[1:2]
	s_delay_alu instid0(VALU_DEP_1) | instskip(SKIP_1) | instid1(VALU_DEP_1)
	v_add_f64 v[1:2], v[7:8], v[1:2]
	s_waitcnt vmcnt(0)
	v_add_f64 v[1:2], v[29:30], v[1:2]
	s_delay_alu instid0(VALU_DEP_1) | instskip(NEXT) | instid1(VALU_DEP_1)
	v_add_f64 v[1:2], v[31:32], v[1:2]
	v_add_f64 v[1:2], v[25:26], v[1:2]
	s_delay_alu instid0(VALU_DEP_1) | instskip(NEXT) | instid1(VALU_DEP_1)
	v_add_f64 v[1:2], v[27:28], v[1:2]
	;; [unrolled: 3-line block ×3, first 2 shown]
	v_add_f64 v[1:2], v[17:18], v[1:2]
	s_delay_alu instid0(VALU_DEP_1)
	v_add_f64 v[1:2], v[19:20], v[1:2]
	ds_store_2addr_stride64_b32 v33, v1, v2 offset1:4
	s_waitcnt lgkmcnt(0)
	s_barrier
	buffer_gl0_inv
	ds_load_2addr_b64 v[36:39], v35 offset1:1
	ds_load_2addr_b64 v[40:43], v35 offset0:128 offset1:129
	ds_load_2addr_b64 v[44:47], v35 offset0:2 offset1:3
	;; [unrolled: 1-line block ×3, first 2 shown]
	s_waitcnt lgkmcnt(3)
	v_mov_b32_e32 v1, v36
	s_waitcnt lgkmcnt(2)
	v_mov_b32_e32 v2, v40
	v_mov_b32_e32 v40, v37
	s_waitcnt lgkmcnt(1)
	v_mov_b32_e32 v36, v44
	s_waitcnt lgkmcnt(0)
	v_dual_mov_b32 v37, v48 :: v_dual_mov_b32 v48, v45
	v_add_f64 v[1:2], v[1:2], v[40:41]
	v_mov_b32_e32 v41, v38
	s_delay_alu instid0(VALU_DEP_1) | instskip(SKIP_1) | instid1(VALU_DEP_1)
	v_add_f64 v[1:2], v[1:2], v[41:42]
	v_mov_b32_e32 v42, v39
	v_add_f64 v[1:2], v[1:2], v[42:43]
	s_delay_alu instid0(VALU_DEP_1) | instskip(NEXT) | instid1(VALU_DEP_1)
	v_add_f64 v[1:2], v[1:2], v[36:37]
	v_add_f64 v[1:2], v[1:2], v[48:49]
	v_mov_b32_e32 v49, v46
	s_delay_alu instid0(VALU_DEP_1) | instskip(SKIP_1) | instid1(VALU_DEP_1)
	v_add_f64 v[1:2], v[1:2], v[49:50]
	v_mov_b32_e32 v50, v47
	v_add_f64 v[1:2], v[1:2], v[50:51]
	s_delay_alu instid0(VALU_DEP_1) | instskip(NEXT) | instid1(VALU_DEP_2)
	v_mov_b32_dpp v36, v1 quad_perm:[1,0,3,2] row_mask:0xf bank_mask:0xf
	v_mov_b32_dpp v37, v2 quad_perm:[1,0,3,2] row_mask:0xf bank_mask:0xf
	s_delay_alu instid0(VALU_DEP_1) | instskip(NEXT) | instid1(VALU_DEP_1)
	v_add_f64 v[1:2], v[1:2], v[36:37]
	v_mov_b32_dpp v36, v1 quad_perm:[2,3,0,1] row_mask:0xf bank_mask:0xf
	s_delay_alu instid0(VALU_DEP_2) | instskip(NEXT) | instid1(VALU_DEP_1)
	v_mov_b32_dpp v37, v2 quad_perm:[2,3,0,1] row_mask:0xf bank_mask:0xf
	v_add_f64 v[1:2], v[1:2], v[36:37]
	s_delay_alu instid0(VALU_DEP_1) | instskip(NEXT) | instid1(VALU_DEP_2)
	v_mov_b32_dpp v36, v1 row_ror:4 row_mask:0xf bank_mask:0xf
	v_mov_b32_dpp v37, v2 row_ror:4 row_mask:0xf bank_mask:0xf
	s_delay_alu instid0(VALU_DEP_1) | instskip(NEXT) | instid1(VALU_DEP_1)
	v_add_f64 v[1:2], v[1:2], v[36:37]
	v_mov_b32_dpp v36, v1 row_ror:8 row_mask:0xf bank_mask:0xf
	s_delay_alu instid0(VALU_DEP_2) | instskip(NEXT) | instid1(VALU_DEP_1)
	v_mov_b32_dpp v37, v2 row_ror:8 row_mask:0xf bank_mask:0xf
	v_add_f64 v[1:2], v[1:2], v[36:37]
	ds_swizzle_b32 v36, v1 offset:swizzle(BROADCAST,32,15)
	ds_swizzle_b32 v37, v2 offset:swizzle(BROADCAST,32,15)
	s_waitcnt lgkmcnt(0)
	v_add_f64 v[1:2], v[1:2], v[36:37]
	ds_bpermute_b32 v1, v34, v1
	ds_bpermute_b32 v2, v34, v2
	s_cbranch_scc0 .LBB125_1
; %bb.2:
	s_mov_b32 s5, 0
	s_mov_b32 s0, exec_lo
	v_cmpx_eq_u32_e32 0, v0
	s_cbranch_execz .LBB125_4
; %bb.3:
	s_lshl_b64 s[0:1], s[4:5], 3
	v_mov_b32_e32 v0, 0
	s_add_u32 s0, s2, s0
	s_addc_u32 s1, s3, s1
	s_waitcnt lgkmcnt(0)
	global_store_b64 v0, v[1:2], s[0:1]
.LBB125_4:
	s_nop 0
	s_sendmsg sendmsg(MSG_DEALLOC_VGPRS)
	s_endpgm
	.section	.rodata,"a",@progbits
	.p2align	6, 0x0
	.amdhsa_kernel _Z6kernelI6reduceILN6hipcub20BlockReduceAlgorithmE1EEdLj256ELj16ELj100EEvPKT0_PS4_
		.amdhsa_group_segment_fixed_size 2048
		.amdhsa_private_segment_fixed_size 0
		.amdhsa_kernarg_size 272
		.amdhsa_user_sgpr_count 15
		.amdhsa_user_sgpr_dispatch_ptr 0
		.amdhsa_user_sgpr_queue_ptr 0
		.amdhsa_user_sgpr_kernarg_segment_ptr 1
		.amdhsa_user_sgpr_dispatch_id 0
		.amdhsa_user_sgpr_private_segment_size 0
		.amdhsa_wavefront_size32 1
		.amdhsa_uses_dynamic_stack 0
		.amdhsa_enable_private_segment 0
		.amdhsa_system_sgpr_workgroup_id_x 1
		.amdhsa_system_sgpr_workgroup_id_y 0
		.amdhsa_system_sgpr_workgroup_id_z 0
		.amdhsa_system_sgpr_workgroup_info 0
		.amdhsa_system_vgpr_workitem_id 0
		.amdhsa_next_free_vgpr 52
		.amdhsa_next_free_sgpr 16
		.amdhsa_reserve_vcc 1
		.amdhsa_float_round_mode_32 0
		.amdhsa_float_round_mode_16_64 0
		.amdhsa_float_denorm_mode_32 3
		.amdhsa_float_denorm_mode_16_64 3
		.amdhsa_dx10_clamp 1
		.amdhsa_ieee_mode 1
		.amdhsa_fp16_overflow 0
		.amdhsa_workgroup_processor_mode 1
		.amdhsa_memory_ordered 1
		.amdhsa_forward_progress 0
		.amdhsa_shared_vgpr_count 0
		.amdhsa_exception_fp_ieee_invalid_op 0
		.amdhsa_exception_fp_denorm_src 0
		.amdhsa_exception_fp_ieee_div_zero 0
		.amdhsa_exception_fp_ieee_overflow 0
		.amdhsa_exception_fp_ieee_underflow 0
		.amdhsa_exception_fp_ieee_inexact 0
		.amdhsa_exception_int_div_zero 0
	.end_amdhsa_kernel
	.section	.text._Z6kernelI6reduceILN6hipcub20BlockReduceAlgorithmE1EEdLj256ELj16ELj100EEvPKT0_PS4_,"axG",@progbits,_Z6kernelI6reduceILN6hipcub20BlockReduceAlgorithmE1EEdLj256ELj16ELj100EEvPKT0_PS4_,comdat
.Lfunc_end125:
	.size	_Z6kernelI6reduceILN6hipcub20BlockReduceAlgorithmE1EEdLj256ELj16ELj100EEvPKT0_PS4_, .Lfunc_end125-_Z6kernelI6reduceILN6hipcub20BlockReduceAlgorithmE1EEdLj256ELj16ELj100EEvPKT0_PS4_
                                        ; -- End function
	.section	.AMDGPU.csdata,"",@progbits
; Kernel info:
; codeLenInByte = 748
; NumSgprs: 18
; NumVgprs: 52
; ScratchSize: 0
; MemoryBound: 1
; FloatMode: 240
; IeeeMode: 1
; LDSByteSize: 2048 bytes/workgroup (compile time only)
; SGPRBlocks: 2
; VGPRBlocks: 6
; NumSGPRsForWavesPerEU: 18
; NumVGPRsForWavesPerEU: 52
; Occupancy: 16
; WaveLimiterHint : 0
; COMPUTE_PGM_RSRC2:SCRATCH_EN: 0
; COMPUTE_PGM_RSRC2:USER_SGPR: 15
; COMPUTE_PGM_RSRC2:TRAP_HANDLER: 0
; COMPUTE_PGM_RSRC2:TGID_X_EN: 1
; COMPUTE_PGM_RSRC2:TGID_Y_EN: 0
; COMPUTE_PGM_RSRC2:TGID_Z_EN: 0
; COMPUTE_PGM_RSRC2:TIDIG_COMP_CNT: 0
	.section	.text._Z6kernelI6reduceILN6hipcub20BlockReduceAlgorithmE1EEaLj256ELj1ELj100EEvPKT0_PS4_,"axG",@progbits,_Z6kernelI6reduceILN6hipcub20BlockReduceAlgorithmE1EEaLj256ELj1ELj100EEvPKT0_PS4_,comdat
	.protected	_Z6kernelI6reduceILN6hipcub20BlockReduceAlgorithmE1EEaLj256ELj1ELj100EEvPKT0_PS4_ ; -- Begin function _Z6kernelI6reduceILN6hipcub20BlockReduceAlgorithmE1EEaLj256ELj1ELj100EEvPKT0_PS4_
	.globl	_Z6kernelI6reduceILN6hipcub20BlockReduceAlgorithmE1EEaLj256ELj1ELj100EEvPKT0_PS4_
	.p2align	8
	.type	_Z6kernelI6reduceILN6hipcub20BlockReduceAlgorithmE1EEaLj256ELj1ELj100EEvPKT0_PS4_,@function
_Z6kernelI6reduceILN6hipcub20BlockReduceAlgorithmE1EEaLj256ELj1ELj100EEvPKT0_PS4_: ; @_Z6kernelI6reduceILN6hipcub20BlockReduceAlgorithmE1EEaLj256ELj1ELj100EEvPKT0_PS4_
; %bb.0:
	s_clause 0x1
	s_load_b32 s4, s[0:1], 0x1c
	s_load_b128 s[0:3], s[0:1], 0x0
	s_waitcnt lgkmcnt(0)
	s_and_b32 s4, s4, 0xffff
	s_delay_alu instid0(SALU_CYCLE_1) | instskip(SKIP_1) | instid1(VALU_DEP_1)
	v_mad_u64_u32 v[1:2], null, s15, s4, v[0:1]
	v_mul_u32_u24_e32 v2, 7, v0
	v_add_nc_u32_e32 v2, v0, v2
	global_load_u8 v3, v1, s[0:1]
	v_mov_b32_e32 v1, 0x7c
	s_movk_i32 s0, 0x64
.LBB126_1:                              ; =>This Inner Loop Header: Depth=1
	s_waitcnt vmcnt(0) lgkmcnt(0)
	ds_store_b8 v0, v3
	s_waitcnt lgkmcnt(0)
	s_barrier
	buffer_gl0_inv
	ds_load_b64 v[3:4], v2
	s_add_i32 s0, s0, -1
	s_delay_alu instid0(SALU_CYCLE_1) | instskip(SKIP_3) | instid1(VALU_DEP_2)
	s_cmp_eq_u32 s0, 0
	s_waitcnt lgkmcnt(0)
	v_lshrrev_b32_e32 v5, 8, v3
	v_lshrrev_b32_e32 v6, 16, v3
	v_add_nc_u16 v5, v5, v3
	v_lshrrev_b32_e32 v3, 24, v3
	s_delay_alu instid0(VALU_DEP_2) | instskip(SKIP_1) | instid1(VALU_DEP_2)
	v_add_nc_u16 v5, v5, v6
	v_lshrrev_b32_e32 v6, 16, v4
	v_add_nc_u16 v3, v5, v3
	v_lshrrev_b32_e32 v5, 8, v4
	s_delay_alu instid0(VALU_DEP_2) | instskip(SKIP_1) | instid1(VALU_DEP_2)
	v_add_nc_u16 v3, v3, v4
	v_lshrrev_b32_e32 v4, 24, v4
	v_add_nc_u16 v3, v3, v5
	s_delay_alu instid0(VALU_DEP_1) | instskip(NEXT) | instid1(VALU_DEP_1)
	v_add_nc_u16 v3, v3, v6
	v_add_nc_u16 v3, v3, v4
	s_delay_alu instid0(VALU_DEP_1) | instskip(NEXT) | instid1(VALU_DEP_1)
	v_and_b32_e32 v4, 0xff, v3
	v_mov_b32_dpp v4, v4 quad_perm:[1,0,3,2] row_mask:0xf bank_mask:0xf
	s_delay_alu instid0(VALU_DEP_1) | instskip(NEXT) | instid1(VALU_DEP_1)
	v_add_nc_u16 v3, v3, v4
	v_and_b32_e32 v4, 0xff, v3
	s_delay_alu instid0(VALU_DEP_1) | instskip(NEXT) | instid1(VALU_DEP_1)
	v_mov_b32_dpp v4, v4 quad_perm:[2,3,0,1] row_mask:0xf bank_mask:0xf
	v_add_nc_u16 v3, v3, v4
	s_delay_alu instid0(VALU_DEP_1) | instskip(NEXT) | instid1(VALU_DEP_1)
	v_and_b32_e32 v4, 0xff, v3
	v_mov_b32_dpp v4, v4 row_ror:4 row_mask:0xf bank_mask:0xf
	s_delay_alu instid0(VALU_DEP_1) | instskip(NEXT) | instid1(VALU_DEP_1)
	v_add_nc_u16 v3, v3, v4
	v_and_b32_e32 v4, 0xff, v3
	s_delay_alu instid0(VALU_DEP_1) | instskip(NEXT) | instid1(VALU_DEP_1)
	v_mov_b32_dpp v4, v4 row_ror:8 row_mask:0xf bank_mask:0xf
	v_add_nc_u16 v3, v3, v4
	s_delay_alu instid0(VALU_DEP_1) | instskip(SKIP_3) | instid1(VALU_DEP_1)
	v_and_b32_e32 v4, 0xff, v3
	ds_swizzle_b32 v4, v4 offset:swizzle(BROADCAST,32,15)
	s_waitcnt lgkmcnt(0)
	v_add_nc_u16 v3, v3, v4
	v_and_b32_e32 v3, 0xff, v3
	ds_bpermute_b32 v3, v1, v3
	s_cbranch_scc0 .LBB126_1
; %bb.2:
	s_mov_b32 s0, exec_lo
	v_cmpx_eq_u32_e32 0, v0
	s_cbranch_execz .LBB126_4
; %bb.3:
	v_mov_b32_e32 v0, s15
	s_waitcnt lgkmcnt(0)
	global_store_b8 v0, v3, s[2:3]
.LBB126_4:
	s_nop 0
	s_sendmsg sendmsg(MSG_DEALLOC_VGPRS)
	s_endpgm
	.section	.rodata,"a",@progbits
	.p2align	6, 0x0
	.amdhsa_kernel _Z6kernelI6reduceILN6hipcub20BlockReduceAlgorithmE1EEaLj256ELj1ELj100EEvPKT0_PS4_
		.amdhsa_group_segment_fixed_size 256
		.amdhsa_private_segment_fixed_size 0
		.amdhsa_kernarg_size 272
		.amdhsa_user_sgpr_count 15
		.amdhsa_user_sgpr_dispatch_ptr 0
		.amdhsa_user_sgpr_queue_ptr 0
		.amdhsa_user_sgpr_kernarg_segment_ptr 1
		.amdhsa_user_sgpr_dispatch_id 0
		.amdhsa_user_sgpr_private_segment_size 0
		.amdhsa_wavefront_size32 1
		.amdhsa_uses_dynamic_stack 0
		.amdhsa_enable_private_segment 0
		.amdhsa_system_sgpr_workgroup_id_x 1
		.amdhsa_system_sgpr_workgroup_id_y 0
		.amdhsa_system_sgpr_workgroup_id_z 0
		.amdhsa_system_sgpr_workgroup_info 0
		.amdhsa_system_vgpr_workitem_id 0
		.amdhsa_next_free_vgpr 7
		.amdhsa_next_free_sgpr 16
		.amdhsa_reserve_vcc 0
		.amdhsa_float_round_mode_32 0
		.amdhsa_float_round_mode_16_64 0
		.amdhsa_float_denorm_mode_32 3
		.amdhsa_float_denorm_mode_16_64 3
		.amdhsa_dx10_clamp 1
		.amdhsa_ieee_mode 1
		.amdhsa_fp16_overflow 0
		.amdhsa_workgroup_processor_mode 1
		.amdhsa_memory_ordered 1
		.amdhsa_forward_progress 0
		.amdhsa_shared_vgpr_count 0
		.amdhsa_exception_fp_ieee_invalid_op 0
		.amdhsa_exception_fp_denorm_src 0
		.amdhsa_exception_fp_ieee_div_zero 0
		.amdhsa_exception_fp_ieee_overflow 0
		.amdhsa_exception_fp_ieee_underflow 0
		.amdhsa_exception_fp_ieee_inexact 0
		.amdhsa_exception_int_div_zero 0
	.end_amdhsa_kernel
	.section	.text._Z6kernelI6reduceILN6hipcub20BlockReduceAlgorithmE1EEaLj256ELj1ELj100EEvPKT0_PS4_,"axG",@progbits,_Z6kernelI6reduceILN6hipcub20BlockReduceAlgorithmE1EEaLj256ELj1ELj100EEvPKT0_PS4_,comdat
.Lfunc_end126:
	.size	_Z6kernelI6reduceILN6hipcub20BlockReduceAlgorithmE1EEaLj256ELj1ELj100EEvPKT0_PS4_, .Lfunc_end126-_Z6kernelI6reduceILN6hipcub20BlockReduceAlgorithmE1EEaLj256ELj1ELj100EEvPKT0_PS4_
                                        ; -- End function
	.section	.AMDGPU.csdata,"",@progbits
; Kernel info:
; codeLenInByte = 428
; NumSgprs: 16
; NumVgprs: 7
; ScratchSize: 0
; MemoryBound: 0
; FloatMode: 240
; IeeeMode: 1
; LDSByteSize: 256 bytes/workgroup (compile time only)
; SGPRBlocks: 1
; VGPRBlocks: 0
; NumSGPRsForWavesPerEU: 16
; NumVGPRsForWavesPerEU: 7
; Occupancy: 16
; WaveLimiterHint : 0
; COMPUTE_PGM_RSRC2:SCRATCH_EN: 0
; COMPUTE_PGM_RSRC2:USER_SGPR: 15
; COMPUTE_PGM_RSRC2:TRAP_HANDLER: 0
; COMPUTE_PGM_RSRC2:TGID_X_EN: 1
; COMPUTE_PGM_RSRC2:TGID_Y_EN: 0
; COMPUTE_PGM_RSRC2:TGID_Z_EN: 0
; COMPUTE_PGM_RSRC2:TIDIG_COMP_CNT: 0
	.section	.text._Z6kernelI6reduceILN6hipcub20BlockReduceAlgorithmE1EEaLj256ELj2ELj100EEvPKT0_PS4_,"axG",@progbits,_Z6kernelI6reduceILN6hipcub20BlockReduceAlgorithmE1EEaLj256ELj2ELj100EEvPKT0_PS4_,comdat
	.protected	_Z6kernelI6reduceILN6hipcub20BlockReduceAlgorithmE1EEaLj256ELj2ELj100EEvPKT0_PS4_ ; -- Begin function _Z6kernelI6reduceILN6hipcub20BlockReduceAlgorithmE1EEaLj256ELj2ELj100EEvPKT0_PS4_
	.globl	_Z6kernelI6reduceILN6hipcub20BlockReduceAlgorithmE1EEaLj256ELj2ELj100EEvPKT0_PS4_
	.p2align	8
	.type	_Z6kernelI6reduceILN6hipcub20BlockReduceAlgorithmE1EEaLj256ELj2ELj100EEvPKT0_PS4_,@function
_Z6kernelI6reduceILN6hipcub20BlockReduceAlgorithmE1EEaLj256ELj2ELj100EEvPKT0_PS4_: ; @_Z6kernelI6reduceILN6hipcub20BlockReduceAlgorithmE1EEaLj256ELj2ELj100EEvPKT0_PS4_
; %bb.0:
	s_clause 0x1
	s_load_b32 s4, s[0:1], 0x1c
	s_load_b128 s[0:3], s[0:1], 0x0
	v_mul_u32_u24_e32 v3, 7, v0
	s_delay_alu instid0(VALU_DEP_1) | instskip(SKIP_2) | instid1(SALU_CYCLE_1)
	v_add_nc_u32_e32 v3, v0, v3
	s_waitcnt lgkmcnt(0)
	s_and_b32 s4, s4, 0xffff
	s_mul_i32 s4, s15, s4
	s_delay_alu instid0(SALU_CYCLE_1)
	v_add_lshl_u32 v1, s4, v0, 1
	global_load_u16 v2, v1, s[0:1]
	v_mov_b32_e32 v1, 0x7c
	s_movk_i32 s0, 0x64
.LBB127_1:                              ; =>This Inner Loop Header: Depth=1
	s_waitcnt vmcnt(0)
	s_delay_alu instid0(VALU_DEP_1) | instskip(SKIP_1) | instid1(SALU_CYCLE_1)
	v_lshrrev_b16 v4, 8, v2
	s_add_i32 s0, s0, -1
	s_cmp_eq_u32 s0, 0
	s_delay_alu instid0(VALU_DEP_1)
	v_add_nc_u16 v4, v4, v2
	v_and_b32_e32 v2, 0xffffff00, v2
	ds_store_b8 v0, v4
	s_waitcnt lgkmcnt(0)
	s_barrier
	buffer_gl0_inv
	ds_load_b64 v[4:5], v3
	s_waitcnt lgkmcnt(0)
	v_lshrrev_b32_e32 v6, 8, v4
	v_lshrrev_b32_e32 v7, 16, v4
	s_delay_alu instid0(VALU_DEP_2) | instskip(SKIP_1) | instid1(VALU_DEP_2)
	v_add_nc_u16 v6, v6, v4
	v_lshrrev_b32_e32 v4, 24, v4
	v_add_nc_u16 v6, v6, v7
	v_lshrrev_b32_e32 v7, 16, v5
	s_delay_alu instid0(VALU_DEP_2) | instskip(SKIP_1) | instid1(VALU_DEP_2)
	v_add_nc_u16 v4, v6, v4
	v_lshrrev_b32_e32 v6, 8, v5
	v_add_nc_u16 v4, v4, v5
	v_lshrrev_b32_e32 v5, 24, v5
	s_delay_alu instid0(VALU_DEP_2) | instskip(NEXT) | instid1(VALU_DEP_1)
	v_add_nc_u16 v4, v4, v6
	v_add_nc_u16 v4, v4, v7
	s_delay_alu instid0(VALU_DEP_1) | instskip(NEXT) | instid1(VALU_DEP_1)
	v_add_nc_u16 v4, v4, v5
	v_and_b32_e32 v5, 0xff, v4
	s_delay_alu instid0(VALU_DEP_1) | instskip(NEXT) | instid1(VALU_DEP_1)
	v_mov_b32_dpp v5, v5 quad_perm:[1,0,3,2] row_mask:0xf bank_mask:0xf
	v_add_nc_u16 v4, v4, v5
	s_delay_alu instid0(VALU_DEP_1) | instskip(NEXT) | instid1(VALU_DEP_1)
	v_and_b32_e32 v5, 0xff, v4
	v_mov_b32_dpp v5, v5 quad_perm:[2,3,0,1] row_mask:0xf bank_mask:0xf
	s_delay_alu instid0(VALU_DEP_1) | instskip(NEXT) | instid1(VALU_DEP_1)
	v_add_nc_u16 v4, v4, v5
	v_and_b32_e32 v5, 0xff, v4
	s_delay_alu instid0(VALU_DEP_1) | instskip(NEXT) | instid1(VALU_DEP_1)
	v_mov_b32_dpp v5, v5 row_ror:4 row_mask:0xf bank_mask:0xf
	v_add_nc_u16 v4, v4, v5
	s_delay_alu instid0(VALU_DEP_1) | instskip(NEXT) | instid1(VALU_DEP_1)
	v_and_b32_e32 v5, 0xff, v4
	v_mov_b32_dpp v5, v5 row_ror:8 row_mask:0xf bank_mask:0xf
	s_delay_alu instid0(VALU_DEP_1) | instskip(NEXT) | instid1(VALU_DEP_1)
	v_add_nc_u16 v4, v4, v5
	v_and_b32_e32 v5, 0xff, v4
	ds_swizzle_b32 v5, v5 offset:swizzle(BROADCAST,32,15)
	s_waitcnt lgkmcnt(0)
	v_add_nc_u16 v4, v4, v5
	s_delay_alu instid0(VALU_DEP_1) | instskip(SKIP_3) | instid1(VALU_DEP_1)
	v_and_b32_e32 v4, 0xff, v4
	ds_bpermute_b32 v4, v1, v4
	s_waitcnt lgkmcnt(0)
	v_and_b32_e32 v5, 0xff, v4
	v_or_b32_e32 v2, v5, v2
	s_delay_alu instid0(VALU_DEP_1)
	v_and_b32_e32 v2, 0xffff, v2
	s_cbranch_scc0 .LBB127_1
; %bb.2:
	s_mov_b32 s0, exec_lo
	v_cmpx_eq_u32_e32 0, v0
	s_cbranch_execz .LBB127_4
; %bb.3:
	v_mov_b32_e32 v0, s15
	global_store_b8 v0, v4, s[2:3]
.LBB127_4:
	s_nop 0
	s_sendmsg sendmsg(MSG_DEALLOC_VGPRS)
	s_endpgm
	.section	.rodata,"a",@progbits
	.p2align	6, 0x0
	.amdhsa_kernel _Z6kernelI6reduceILN6hipcub20BlockReduceAlgorithmE1EEaLj256ELj2ELj100EEvPKT0_PS4_
		.amdhsa_group_segment_fixed_size 256
		.amdhsa_private_segment_fixed_size 0
		.amdhsa_kernarg_size 272
		.amdhsa_user_sgpr_count 15
		.amdhsa_user_sgpr_dispatch_ptr 0
		.amdhsa_user_sgpr_queue_ptr 0
		.amdhsa_user_sgpr_kernarg_segment_ptr 1
		.amdhsa_user_sgpr_dispatch_id 0
		.amdhsa_user_sgpr_private_segment_size 0
		.amdhsa_wavefront_size32 1
		.amdhsa_uses_dynamic_stack 0
		.amdhsa_enable_private_segment 0
		.amdhsa_system_sgpr_workgroup_id_x 1
		.amdhsa_system_sgpr_workgroup_id_y 0
		.amdhsa_system_sgpr_workgroup_id_z 0
		.amdhsa_system_sgpr_workgroup_info 0
		.amdhsa_system_vgpr_workitem_id 0
		.amdhsa_next_free_vgpr 8
		.amdhsa_next_free_sgpr 16
		.amdhsa_reserve_vcc 0
		.amdhsa_float_round_mode_32 0
		.amdhsa_float_round_mode_16_64 0
		.amdhsa_float_denorm_mode_32 3
		.amdhsa_float_denorm_mode_16_64 3
		.amdhsa_dx10_clamp 1
		.amdhsa_ieee_mode 1
		.amdhsa_fp16_overflow 0
		.amdhsa_workgroup_processor_mode 1
		.amdhsa_memory_ordered 1
		.amdhsa_forward_progress 0
		.amdhsa_shared_vgpr_count 0
		.amdhsa_exception_fp_ieee_invalid_op 0
		.amdhsa_exception_fp_denorm_src 0
		.amdhsa_exception_fp_ieee_div_zero 0
		.amdhsa_exception_fp_ieee_overflow 0
		.amdhsa_exception_fp_ieee_underflow 0
		.amdhsa_exception_fp_ieee_inexact 0
		.amdhsa_exception_int_div_zero 0
	.end_amdhsa_kernel
	.section	.text._Z6kernelI6reduceILN6hipcub20BlockReduceAlgorithmE1EEaLj256ELj2ELj100EEvPKT0_PS4_,"axG",@progbits,_Z6kernelI6reduceILN6hipcub20BlockReduceAlgorithmE1EEaLj256ELj2ELj100EEvPKT0_PS4_,comdat
.Lfunc_end127:
	.size	_Z6kernelI6reduceILN6hipcub20BlockReduceAlgorithmE1EEaLj256ELj2ELj100EEvPKT0_PS4_, .Lfunc_end127-_Z6kernelI6reduceILN6hipcub20BlockReduceAlgorithmE1EEaLj256ELj2ELj100EEvPKT0_PS4_
                                        ; -- End function
	.section	.AMDGPU.csdata,"",@progbits
; Kernel info:
; codeLenInByte = 492
; NumSgprs: 16
; NumVgprs: 8
; ScratchSize: 0
; MemoryBound: 0
; FloatMode: 240
; IeeeMode: 1
; LDSByteSize: 256 bytes/workgroup (compile time only)
; SGPRBlocks: 1
; VGPRBlocks: 0
; NumSGPRsForWavesPerEU: 16
; NumVGPRsForWavesPerEU: 8
; Occupancy: 16
; WaveLimiterHint : 0
; COMPUTE_PGM_RSRC2:SCRATCH_EN: 0
; COMPUTE_PGM_RSRC2:USER_SGPR: 15
; COMPUTE_PGM_RSRC2:TRAP_HANDLER: 0
; COMPUTE_PGM_RSRC2:TGID_X_EN: 1
; COMPUTE_PGM_RSRC2:TGID_Y_EN: 0
; COMPUTE_PGM_RSRC2:TGID_Z_EN: 0
; COMPUTE_PGM_RSRC2:TIDIG_COMP_CNT: 0
	.section	.text._Z6kernelI6reduceILN6hipcub20BlockReduceAlgorithmE1EEaLj256ELj3ELj100EEvPKT0_PS4_,"axG",@progbits,_Z6kernelI6reduceILN6hipcub20BlockReduceAlgorithmE1EEaLj256ELj3ELj100EEvPKT0_PS4_,comdat
	.protected	_Z6kernelI6reduceILN6hipcub20BlockReduceAlgorithmE1EEaLj256ELj3ELj100EEvPKT0_PS4_ ; -- Begin function _Z6kernelI6reduceILN6hipcub20BlockReduceAlgorithmE1EEaLj256ELj3ELj100EEvPKT0_PS4_
	.globl	_Z6kernelI6reduceILN6hipcub20BlockReduceAlgorithmE1EEaLj256ELj3ELj100EEvPKT0_PS4_
	.p2align	8
	.type	_Z6kernelI6reduceILN6hipcub20BlockReduceAlgorithmE1EEaLj256ELj3ELj100EEvPKT0_PS4_,@function
_Z6kernelI6reduceILN6hipcub20BlockReduceAlgorithmE1EEaLj256ELj3ELj100EEvPKT0_PS4_: ; @_Z6kernelI6reduceILN6hipcub20BlockReduceAlgorithmE1EEaLj256ELj3ELj100EEvPKT0_PS4_
; %bb.0:
	s_clause 0x1
	s_load_b32 s4, s[0:1], 0x1c
	s_load_b128 s[0:3], s[0:1], 0x0
	s_waitcnt lgkmcnt(0)
	s_and_b32 s4, s4, 0xffff
	s_delay_alu instid0(SALU_CYCLE_1) | instskip(NEXT) | instid1(VALU_DEP_1)
	v_mad_u64_u32 v[1:2], null, s15, s4, v[0:1]
	v_lshl_add_u32 v1, v1, 1, v1
	s_delay_alu instid0(VALU_DEP_1)
	v_add_nc_u32_e32 v2, 1, v1
	s_clause 0x1
	global_load_u8 v2, v2, s[0:1]
	global_load_u8 v3, v1, s[0:1]
	v_add_nc_u32_e32 v1, 2, v1
	global_load_u8 v4, v1, s[0:1]
	s_movk_i32 s0, 0x64
	s_waitcnt vmcnt(2)
	v_lshlrev_b16 v1, 8, v2
	s_waitcnt vmcnt(1)
	s_delay_alu instid0(VALU_DEP_1) | instskip(SKIP_1) | instid1(VALU_DEP_2)
	v_or_b32_e32 v1, v3, v1
	v_mul_u32_u24_e32 v3, 7, v0
	v_and_b32_e32 v2, 0xffff, v1
	v_mov_b32_e32 v1, 0x7c
	s_delay_alu instid0(VALU_DEP_3) | instskip(SKIP_1) | instid1(VALU_DEP_3)
	v_add_nc_u32_e32 v3, v0, v3
	s_waitcnt vmcnt(0)
	v_lshl_or_b32 v2, v4, 16, v2
.LBB128_1:                              ; =>This Inner Loop Header: Depth=1
	s_delay_alu instid0(VALU_DEP_1) | instskip(SKIP_2) | instid1(SALU_CYCLE_1)
	v_lshrrev_b32_e32 v6, 8, v2
	v_lshrrev_b32_e32 v4, 16, v2
	s_add_i32 s0, s0, -1
	s_cmp_eq_u32 s0, 0
	s_delay_alu instid0(VALU_DEP_2) | instskip(NEXT) | instid1(VALU_DEP_1)
	v_add_nc_u16 v5, v6, v2
	v_add_nc_u16 v4, v5, v4
	ds_store_b8 v0, v4
	s_waitcnt lgkmcnt(0)
	s_barrier
	buffer_gl0_inv
	ds_load_b64 v[4:5], v3
	s_waitcnt lgkmcnt(0)
	v_lshrrev_b32_e32 v7, 8, v4
	v_lshrrev_b32_e32 v8, 16, v4
	s_delay_alu instid0(VALU_DEP_2) | instskip(SKIP_1) | instid1(VALU_DEP_2)
	v_add_nc_u16 v7, v7, v4
	v_lshrrev_b32_e32 v4, 24, v4
	v_add_nc_u16 v7, v7, v8
	v_lshrrev_b32_e32 v8, 16, v5
	s_delay_alu instid0(VALU_DEP_2) | instskip(SKIP_1) | instid1(VALU_DEP_2)
	v_add_nc_u16 v4, v7, v4
	v_lshrrev_b32_e32 v7, 8, v5
	v_add_nc_u16 v4, v4, v5
	v_lshrrev_b32_e32 v5, 24, v5
	s_delay_alu instid0(VALU_DEP_2) | instskip(NEXT) | instid1(VALU_DEP_1)
	v_add_nc_u16 v4, v4, v7
	v_add_nc_u16 v4, v4, v8
	s_delay_alu instid0(VALU_DEP_1) | instskip(NEXT) | instid1(VALU_DEP_1)
	v_add_nc_u16 v4, v4, v5
	v_and_b32_e32 v5, 0xff, v4
	s_delay_alu instid0(VALU_DEP_1) | instskip(NEXT) | instid1(VALU_DEP_1)
	v_mov_b32_dpp v5, v5 quad_perm:[1,0,3,2] row_mask:0xf bank_mask:0xf
	v_add_nc_u16 v4, v4, v5
	s_delay_alu instid0(VALU_DEP_1) | instskip(NEXT) | instid1(VALU_DEP_1)
	v_and_b32_e32 v5, 0xff, v4
	v_mov_b32_dpp v5, v5 quad_perm:[2,3,0,1] row_mask:0xf bank_mask:0xf
	s_delay_alu instid0(VALU_DEP_1) | instskip(NEXT) | instid1(VALU_DEP_1)
	v_add_nc_u16 v4, v4, v5
	v_and_b32_e32 v5, 0xff, v4
	s_delay_alu instid0(VALU_DEP_1) | instskip(NEXT) | instid1(VALU_DEP_1)
	v_mov_b32_dpp v5, v5 row_ror:4 row_mask:0xf bank_mask:0xf
	v_add_nc_u16 v4, v4, v5
	s_delay_alu instid0(VALU_DEP_1) | instskip(NEXT) | instid1(VALU_DEP_1)
	v_and_b32_e32 v5, 0xff, v4
	v_mov_b32_dpp v5, v5 row_ror:8 row_mask:0xf bank_mask:0xf
	s_delay_alu instid0(VALU_DEP_1) | instskip(NEXT) | instid1(VALU_DEP_1)
	v_add_nc_u16 v4, v4, v5
	v_and_b32_e32 v5, 0xff, v4
	ds_swizzle_b32 v5, v5 offset:swizzle(BROADCAST,32,15)
	s_waitcnt lgkmcnt(0)
	v_add_nc_u16 v4, v4, v5
	v_lshlrev_b16 v5, 8, v6
	s_delay_alu instid0(VALU_DEP_2) | instskip(SKIP_3) | instid1(VALU_DEP_1)
	v_and_b32_e32 v4, 0xff, v4
	ds_bpermute_b32 v4, v1, v4
	s_waitcnt lgkmcnt(0)
	v_and_b32_e32 v6, 0xff, v4
	v_or_b32_e32 v5, v6, v5
	s_delay_alu instid0(VALU_DEP_1) | instskip(NEXT) | instid1(VALU_DEP_1)
	v_and_b32_e32 v5, 0xffff, v5
	v_and_or_b32 v2, 0xff0000, v2, v5
	s_cbranch_scc0 .LBB128_1
; %bb.2:
	s_mov_b32 s0, exec_lo
	v_cmpx_eq_u32_e32 0, v0
	s_cbranch_execz .LBB128_4
; %bb.3:
	v_mov_b32_e32 v0, s15
	global_store_b8 v0, v4, s[2:3]
.LBB128_4:
	s_nop 0
	s_sendmsg sendmsg(MSG_DEALLOC_VGPRS)
	s_endpgm
	.section	.rodata,"a",@progbits
	.p2align	6, 0x0
	.amdhsa_kernel _Z6kernelI6reduceILN6hipcub20BlockReduceAlgorithmE1EEaLj256ELj3ELj100EEvPKT0_PS4_
		.amdhsa_group_segment_fixed_size 256
		.amdhsa_private_segment_fixed_size 0
		.amdhsa_kernarg_size 272
		.amdhsa_user_sgpr_count 15
		.amdhsa_user_sgpr_dispatch_ptr 0
		.amdhsa_user_sgpr_queue_ptr 0
		.amdhsa_user_sgpr_kernarg_segment_ptr 1
		.amdhsa_user_sgpr_dispatch_id 0
		.amdhsa_user_sgpr_private_segment_size 0
		.amdhsa_wavefront_size32 1
		.amdhsa_uses_dynamic_stack 0
		.amdhsa_enable_private_segment 0
		.amdhsa_system_sgpr_workgroup_id_x 1
		.amdhsa_system_sgpr_workgroup_id_y 0
		.amdhsa_system_sgpr_workgroup_id_z 0
		.amdhsa_system_sgpr_workgroup_info 0
		.amdhsa_system_vgpr_workitem_id 0
		.amdhsa_next_free_vgpr 9
		.amdhsa_next_free_sgpr 16
		.amdhsa_reserve_vcc 0
		.amdhsa_float_round_mode_32 0
		.amdhsa_float_round_mode_16_64 0
		.amdhsa_float_denorm_mode_32 3
		.amdhsa_float_denorm_mode_16_64 3
		.amdhsa_dx10_clamp 1
		.amdhsa_ieee_mode 1
		.amdhsa_fp16_overflow 0
		.amdhsa_workgroup_processor_mode 1
		.amdhsa_memory_ordered 1
		.amdhsa_forward_progress 0
		.amdhsa_shared_vgpr_count 0
		.amdhsa_exception_fp_ieee_invalid_op 0
		.amdhsa_exception_fp_denorm_src 0
		.amdhsa_exception_fp_ieee_div_zero 0
		.amdhsa_exception_fp_ieee_overflow 0
		.amdhsa_exception_fp_ieee_underflow 0
		.amdhsa_exception_fp_ieee_inexact 0
		.amdhsa_exception_int_div_zero 0
	.end_amdhsa_kernel
	.section	.text._Z6kernelI6reduceILN6hipcub20BlockReduceAlgorithmE1EEaLj256ELj3ELj100EEvPKT0_PS4_,"axG",@progbits,_Z6kernelI6reduceILN6hipcub20BlockReduceAlgorithmE1EEaLj256ELj3ELj100EEvPKT0_PS4_,comdat
.Lfunc_end128:
	.size	_Z6kernelI6reduceILN6hipcub20BlockReduceAlgorithmE1EEaLj256ELj3ELj100EEvPKT0_PS4_, .Lfunc_end128-_Z6kernelI6reduceILN6hipcub20BlockReduceAlgorithmE1EEaLj256ELj3ELj100EEvPKT0_PS4_
                                        ; -- End function
	.section	.AMDGPU.csdata,"",@progbits
; Kernel info:
; codeLenInByte = 588
; NumSgprs: 16
; NumVgprs: 9
; ScratchSize: 0
; MemoryBound: 0
; FloatMode: 240
; IeeeMode: 1
; LDSByteSize: 256 bytes/workgroup (compile time only)
; SGPRBlocks: 1
; VGPRBlocks: 1
; NumSGPRsForWavesPerEU: 16
; NumVGPRsForWavesPerEU: 9
; Occupancy: 16
; WaveLimiterHint : 0
; COMPUTE_PGM_RSRC2:SCRATCH_EN: 0
; COMPUTE_PGM_RSRC2:USER_SGPR: 15
; COMPUTE_PGM_RSRC2:TRAP_HANDLER: 0
; COMPUTE_PGM_RSRC2:TGID_X_EN: 1
; COMPUTE_PGM_RSRC2:TGID_Y_EN: 0
; COMPUTE_PGM_RSRC2:TGID_Z_EN: 0
; COMPUTE_PGM_RSRC2:TIDIG_COMP_CNT: 0
	.section	.text._Z6kernelI6reduceILN6hipcub20BlockReduceAlgorithmE1EEaLj256ELj4ELj100EEvPKT0_PS4_,"axG",@progbits,_Z6kernelI6reduceILN6hipcub20BlockReduceAlgorithmE1EEaLj256ELj4ELj100EEvPKT0_PS4_,comdat
	.protected	_Z6kernelI6reduceILN6hipcub20BlockReduceAlgorithmE1EEaLj256ELj4ELj100EEvPKT0_PS4_ ; -- Begin function _Z6kernelI6reduceILN6hipcub20BlockReduceAlgorithmE1EEaLj256ELj4ELj100EEvPKT0_PS4_
	.globl	_Z6kernelI6reduceILN6hipcub20BlockReduceAlgorithmE1EEaLj256ELj4ELj100EEvPKT0_PS4_
	.p2align	8
	.type	_Z6kernelI6reduceILN6hipcub20BlockReduceAlgorithmE1EEaLj256ELj4ELj100EEvPKT0_PS4_,@function
_Z6kernelI6reduceILN6hipcub20BlockReduceAlgorithmE1EEaLj256ELj4ELj100EEvPKT0_PS4_: ; @_Z6kernelI6reduceILN6hipcub20BlockReduceAlgorithmE1EEaLj256ELj4ELj100EEvPKT0_PS4_
; %bb.0:
	s_clause 0x1
	s_load_b32 s4, s[0:1], 0x1c
	s_load_b128 s[0:3], s[0:1], 0x0
	v_mul_u32_u24_e32 v3, 7, v0
	s_delay_alu instid0(VALU_DEP_1) | instskip(SKIP_2) | instid1(SALU_CYCLE_1)
	v_dual_mov_b32 v2, 0x7c :: v_dual_add_nc_u32 v3, v0, v3
	s_waitcnt lgkmcnt(0)
	s_and_b32 s4, s4, 0xffff
	s_mul_i32 s4, s15, s4
	s_delay_alu instid0(SALU_CYCLE_1)
	v_add_lshl_u32 v1, s4, v0, 2
	global_load_b32 v1, v1, s[0:1]
	s_movk_i32 s0, 0x64
.LBB129_1:                              ; =>This Inner Loop Header: Depth=1
	s_waitcnt vmcnt(0)
	s_delay_alu instid0(VALU_DEP_1) | instskip(SKIP_3) | instid1(SALU_CYCLE_1)
	v_lshrrev_b32_e32 v4, 8, v1
	v_lshrrev_b32_e32 v5, 16, v1
	;; [unrolled: 1-line block ×3, first 2 shown]
	s_add_i32 s0, s0, -1
	s_cmp_eq_u32 s0, 0
	v_add_nc_u16 v4, v4, v1
	s_delay_alu instid0(VALU_DEP_1) | instskip(NEXT) | instid1(VALU_DEP_1)
	v_add_nc_u16 v4, v4, v5
	v_add_nc_u16 v4, v4, v6
	ds_store_b8 v0, v4
	s_waitcnt lgkmcnt(0)
	s_barrier
	buffer_gl0_inv
	ds_load_b64 v[4:5], v3
	s_waitcnt lgkmcnt(0)
	v_lshrrev_b32_e32 v6, 8, v4
	v_lshrrev_b32_e32 v7, 16, v4
	s_delay_alu instid0(VALU_DEP_2) | instskip(SKIP_1) | instid1(VALU_DEP_2)
	v_add_nc_u16 v6, v6, v4
	v_lshrrev_b32_e32 v4, 24, v4
	v_add_nc_u16 v6, v6, v7
	v_lshrrev_b32_e32 v7, 16, v5
	s_delay_alu instid0(VALU_DEP_2) | instskip(SKIP_1) | instid1(VALU_DEP_2)
	v_add_nc_u16 v4, v6, v4
	v_lshrrev_b32_e32 v6, 8, v5
	v_add_nc_u16 v4, v4, v5
	v_lshrrev_b32_e32 v5, 24, v5
	s_delay_alu instid0(VALU_DEP_2) | instskip(NEXT) | instid1(VALU_DEP_1)
	v_add_nc_u16 v4, v4, v6
	v_add_nc_u16 v4, v4, v7
	s_delay_alu instid0(VALU_DEP_1) | instskip(NEXT) | instid1(VALU_DEP_1)
	v_add_nc_u16 v4, v4, v5
	v_and_b32_e32 v5, 0xff, v4
	s_delay_alu instid0(VALU_DEP_1) | instskip(NEXT) | instid1(VALU_DEP_1)
	v_mov_b32_dpp v5, v5 quad_perm:[1,0,3,2] row_mask:0xf bank_mask:0xf
	v_add_nc_u16 v4, v4, v5
	s_delay_alu instid0(VALU_DEP_1) | instskip(NEXT) | instid1(VALU_DEP_1)
	v_and_b32_e32 v5, 0xff, v4
	v_mov_b32_dpp v5, v5 quad_perm:[2,3,0,1] row_mask:0xf bank_mask:0xf
	s_delay_alu instid0(VALU_DEP_1) | instskip(NEXT) | instid1(VALU_DEP_1)
	v_add_nc_u16 v4, v4, v5
	v_and_b32_e32 v5, 0xff, v4
	s_delay_alu instid0(VALU_DEP_1) | instskip(NEXT) | instid1(VALU_DEP_1)
	v_mov_b32_dpp v5, v5 row_ror:4 row_mask:0xf bank_mask:0xf
	v_add_nc_u16 v4, v4, v5
	s_delay_alu instid0(VALU_DEP_1) | instskip(NEXT) | instid1(VALU_DEP_1)
	v_and_b32_e32 v5, 0xff, v4
	v_mov_b32_dpp v5, v5 row_ror:8 row_mask:0xf bank_mask:0xf
	s_delay_alu instid0(VALU_DEP_1) | instskip(NEXT) | instid1(VALU_DEP_1)
	v_add_nc_u16 v4, v4, v5
	v_and_b32_e32 v5, 0xff, v4
	ds_swizzle_b32 v5, v5 offset:swizzle(BROADCAST,32,15)
	s_waitcnt lgkmcnt(0)
	v_add_nc_u16 v4, v4, v5
	s_delay_alu instid0(VALU_DEP_1)
	v_and_b32_e32 v4, 0xff, v4
	ds_bpermute_b32 v4, v2, v4
	s_waitcnt lgkmcnt(0)
	v_perm_b32 v1, v4, v1, 0x3020104
	s_cbranch_scc0 .LBB129_1
; %bb.2:
	s_mov_b32 s0, exec_lo
	v_cmpx_eq_u32_e32 0, v0
	s_cbranch_execz .LBB129_4
; %bb.3:
	v_mov_b32_e32 v0, s15
	global_store_b8 v0, v4, s[2:3]
.LBB129_4:
	s_nop 0
	s_sendmsg sendmsg(MSG_DEALLOC_VGPRS)
	s_endpgm
	.section	.rodata,"a",@progbits
	.p2align	6, 0x0
	.amdhsa_kernel _Z6kernelI6reduceILN6hipcub20BlockReduceAlgorithmE1EEaLj256ELj4ELj100EEvPKT0_PS4_
		.amdhsa_group_segment_fixed_size 256
		.amdhsa_private_segment_fixed_size 0
		.amdhsa_kernarg_size 272
		.amdhsa_user_sgpr_count 15
		.amdhsa_user_sgpr_dispatch_ptr 0
		.amdhsa_user_sgpr_queue_ptr 0
		.amdhsa_user_sgpr_kernarg_segment_ptr 1
		.amdhsa_user_sgpr_dispatch_id 0
		.amdhsa_user_sgpr_private_segment_size 0
		.amdhsa_wavefront_size32 1
		.amdhsa_uses_dynamic_stack 0
		.amdhsa_enable_private_segment 0
		.amdhsa_system_sgpr_workgroup_id_x 1
		.amdhsa_system_sgpr_workgroup_id_y 0
		.amdhsa_system_sgpr_workgroup_id_z 0
		.amdhsa_system_sgpr_workgroup_info 0
		.amdhsa_system_vgpr_workitem_id 0
		.amdhsa_next_free_vgpr 8
		.amdhsa_next_free_sgpr 16
		.amdhsa_reserve_vcc 0
		.amdhsa_float_round_mode_32 0
		.amdhsa_float_round_mode_16_64 0
		.amdhsa_float_denorm_mode_32 3
		.amdhsa_float_denorm_mode_16_64 3
		.amdhsa_dx10_clamp 1
		.amdhsa_ieee_mode 1
		.amdhsa_fp16_overflow 0
		.amdhsa_workgroup_processor_mode 1
		.amdhsa_memory_ordered 1
		.amdhsa_forward_progress 0
		.amdhsa_shared_vgpr_count 0
		.amdhsa_exception_fp_ieee_invalid_op 0
		.amdhsa_exception_fp_denorm_src 0
		.amdhsa_exception_fp_ieee_div_zero 0
		.amdhsa_exception_fp_ieee_overflow 0
		.amdhsa_exception_fp_ieee_underflow 0
		.amdhsa_exception_fp_ieee_inexact 0
		.amdhsa_exception_int_div_zero 0
	.end_amdhsa_kernel
	.section	.text._Z6kernelI6reduceILN6hipcub20BlockReduceAlgorithmE1EEaLj256ELj4ELj100EEvPKT0_PS4_,"axG",@progbits,_Z6kernelI6reduceILN6hipcub20BlockReduceAlgorithmE1EEaLj256ELj4ELj100EEvPKT0_PS4_,comdat
.Lfunc_end129:
	.size	_Z6kernelI6reduceILN6hipcub20BlockReduceAlgorithmE1EEaLj256ELj4ELj100EEvPKT0_PS4_, .Lfunc_end129-_Z6kernelI6reduceILN6hipcub20BlockReduceAlgorithmE1EEaLj256ELj4ELj100EEvPKT0_PS4_
                                        ; -- End function
	.section	.AMDGPU.csdata,"",@progbits
; Kernel info:
; codeLenInByte = 492
; NumSgprs: 16
; NumVgprs: 8
; ScratchSize: 0
; MemoryBound: 0
; FloatMode: 240
; IeeeMode: 1
; LDSByteSize: 256 bytes/workgroup (compile time only)
; SGPRBlocks: 1
; VGPRBlocks: 0
; NumSGPRsForWavesPerEU: 16
; NumVGPRsForWavesPerEU: 8
; Occupancy: 16
; WaveLimiterHint : 0
; COMPUTE_PGM_RSRC2:SCRATCH_EN: 0
; COMPUTE_PGM_RSRC2:USER_SGPR: 15
; COMPUTE_PGM_RSRC2:TRAP_HANDLER: 0
; COMPUTE_PGM_RSRC2:TGID_X_EN: 1
; COMPUTE_PGM_RSRC2:TGID_Y_EN: 0
; COMPUTE_PGM_RSRC2:TGID_Z_EN: 0
; COMPUTE_PGM_RSRC2:TIDIG_COMP_CNT: 0
	.section	.text._Z6kernelI6reduceILN6hipcub20BlockReduceAlgorithmE1EEaLj256ELj8ELj100EEvPKT0_PS4_,"axG",@progbits,_Z6kernelI6reduceILN6hipcub20BlockReduceAlgorithmE1EEaLj256ELj8ELj100EEvPKT0_PS4_,comdat
	.protected	_Z6kernelI6reduceILN6hipcub20BlockReduceAlgorithmE1EEaLj256ELj8ELj100EEvPKT0_PS4_ ; -- Begin function _Z6kernelI6reduceILN6hipcub20BlockReduceAlgorithmE1EEaLj256ELj8ELj100EEvPKT0_PS4_
	.globl	_Z6kernelI6reduceILN6hipcub20BlockReduceAlgorithmE1EEaLj256ELj8ELj100EEvPKT0_PS4_
	.p2align	8
	.type	_Z6kernelI6reduceILN6hipcub20BlockReduceAlgorithmE1EEaLj256ELj8ELj100EEvPKT0_PS4_,@function
_Z6kernelI6reduceILN6hipcub20BlockReduceAlgorithmE1EEaLj256ELj8ELj100EEvPKT0_PS4_: ; @_Z6kernelI6reduceILN6hipcub20BlockReduceAlgorithmE1EEaLj256ELj8ELj100EEvPKT0_PS4_
; %bb.0:
	s_clause 0x1
	s_load_b32 s4, s[0:1], 0x1c
	s_load_b128 s[0:3], s[0:1], 0x0
	v_mul_u32_u24_e32 v4, 7, v0
	s_delay_alu instid0(VALU_DEP_1) | instskip(SKIP_2) | instid1(SALU_CYCLE_1)
	v_dual_mov_b32 v3, 0x7c :: v_dual_add_nc_u32 v4, v0, v4
	s_waitcnt lgkmcnt(0)
	s_and_b32 s4, s4, 0xffff
	s_mul_i32 s4, s15, s4
	s_delay_alu instid0(SALU_CYCLE_1)
	v_add_lshl_u32 v1, s4, v0, 3
	global_load_b64 v[1:2], v1, s[0:1]
	s_movk_i32 s0, 0x64
.LBB130_1:                              ; =>This Inner Loop Header: Depth=1
	s_waitcnt vmcnt(0)
	s_delay_alu instid0(VALU_DEP_1)
	v_lshrrev_b32_e32 v6, 8, v1
	v_lshrrev_b32_e32 v8, 16, v1
	;; [unrolled: 1-line block ×5, first 2 shown]
	v_add_nc_u16 v6, v6, v1
	v_lshrrev_b32_e32 v10, 24, v2
	s_add_i32 s0, s0, -1
	s_delay_alu instid0(SALU_CYCLE_1) | instskip(NEXT) | instid1(VALU_DEP_2)
	s_cmp_eq_u32 s0, 0
	v_add_nc_u16 v6, v6, v8
	s_delay_alu instid0(VALU_DEP_1) | instskip(NEXT) | instid1(VALU_DEP_1)
	v_add_nc_u16 v6, v6, v9
	v_add_nc_u16 v6, v6, v2
	v_perm_b32 v2, v2, v2, 0x3060504
	s_delay_alu instid0(VALU_DEP_2) | instskip(NEXT) | instid1(VALU_DEP_1)
	v_add_nc_u16 v6, v6, v7
	v_add_nc_u16 v5, v6, v5
	s_delay_alu instid0(VALU_DEP_1)
	v_add_nc_u16 v5, v5, v10
	ds_store_b8 v0, v5
	s_waitcnt lgkmcnt(0)
	s_barrier
	buffer_gl0_inv
	ds_load_b64 v[5:6], v4
	s_waitcnt lgkmcnt(0)
	v_lshrrev_b32_e32 v7, 8, v5
	v_lshrrev_b32_e32 v8, 16, v5
	s_delay_alu instid0(VALU_DEP_2) | instskip(SKIP_1) | instid1(VALU_DEP_2)
	v_add_nc_u16 v7, v7, v5
	v_lshrrev_b32_e32 v5, 24, v5
	v_add_nc_u16 v7, v7, v8
	v_lshrrev_b32_e32 v8, 16, v6
	s_delay_alu instid0(VALU_DEP_2) | instskip(SKIP_1) | instid1(VALU_DEP_2)
	v_add_nc_u16 v5, v7, v5
	v_lshrrev_b32_e32 v7, 8, v6
	v_add_nc_u16 v5, v5, v6
	v_lshrrev_b32_e32 v6, 24, v6
	s_delay_alu instid0(VALU_DEP_2) | instskip(NEXT) | instid1(VALU_DEP_1)
	v_add_nc_u16 v5, v5, v7
	v_add_nc_u16 v5, v5, v8
	s_delay_alu instid0(VALU_DEP_1) | instskip(NEXT) | instid1(VALU_DEP_1)
	v_add_nc_u16 v5, v5, v6
	v_and_b32_e32 v6, 0xff, v5
	s_delay_alu instid0(VALU_DEP_1) | instskip(NEXT) | instid1(VALU_DEP_1)
	v_mov_b32_dpp v6, v6 quad_perm:[1,0,3,2] row_mask:0xf bank_mask:0xf
	v_add_nc_u16 v5, v5, v6
	s_delay_alu instid0(VALU_DEP_1) | instskip(NEXT) | instid1(VALU_DEP_1)
	v_and_b32_e32 v6, 0xff, v5
	v_mov_b32_dpp v6, v6 quad_perm:[2,3,0,1] row_mask:0xf bank_mask:0xf
	s_delay_alu instid0(VALU_DEP_1) | instskip(NEXT) | instid1(VALU_DEP_1)
	v_add_nc_u16 v5, v5, v6
	v_and_b32_e32 v6, 0xff, v5
	s_delay_alu instid0(VALU_DEP_1) | instskip(NEXT) | instid1(VALU_DEP_1)
	v_mov_b32_dpp v6, v6 row_ror:4 row_mask:0xf bank_mask:0xf
	v_add_nc_u16 v5, v5, v6
	s_delay_alu instid0(VALU_DEP_1) | instskip(NEXT) | instid1(VALU_DEP_1)
	v_and_b32_e32 v6, 0xff, v5
	v_mov_b32_dpp v6, v6 row_ror:8 row_mask:0xf bank_mask:0xf
	s_delay_alu instid0(VALU_DEP_1) | instskip(NEXT) | instid1(VALU_DEP_1)
	v_add_nc_u16 v5, v5, v6
	v_and_b32_e32 v6, 0xff, v5
	ds_swizzle_b32 v6, v6 offset:swizzle(BROADCAST,32,15)
	s_waitcnt lgkmcnt(0)
	v_add_nc_u16 v5, v5, v6
	s_delay_alu instid0(VALU_DEP_1)
	v_and_b32_e32 v5, 0xff, v5
	ds_bpermute_b32 v5, v3, v5
	s_waitcnt lgkmcnt(0)
	v_perm_b32 v1, v5, v1, 0x3020104
	s_cbranch_scc0 .LBB130_1
; %bb.2:
	s_mov_b32 s0, exec_lo
	v_cmpx_eq_u32_e32 0, v0
	s_cbranch_execz .LBB130_4
; %bb.3:
	v_mov_b32_e32 v0, s15
	global_store_b8 v0, v5, s[2:3]
.LBB130_4:
	s_nop 0
	s_sendmsg sendmsg(MSG_DEALLOC_VGPRS)
	s_endpgm
	.section	.rodata,"a",@progbits
	.p2align	6, 0x0
	.amdhsa_kernel _Z6kernelI6reduceILN6hipcub20BlockReduceAlgorithmE1EEaLj256ELj8ELj100EEvPKT0_PS4_
		.amdhsa_group_segment_fixed_size 256
		.amdhsa_private_segment_fixed_size 0
		.amdhsa_kernarg_size 272
		.amdhsa_user_sgpr_count 15
		.amdhsa_user_sgpr_dispatch_ptr 0
		.amdhsa_user_sgpr_queue_ptr 0
		.amdhsa_user_sgpr_kernarg_segment_ptr 1
		.amdhsa_user_sgpr_dispatch_id 0
		.amdhsa_user_sgpr_private_segment_size 0
		.amdhsa_wavefront_size32 1
		.amdhsa_uses_dynamic_stack 0
		.amdhsa_enable_private_segment 0
		.amdhsa_system_sgpr_workgroup_id_x 1
		.amdhsa_system_sgpr_workgroup_id_y 0
		.amdhsa_system_sgpr_workgroup_id_z 0
		.amdhsa_system_sgpr_workgroup_info 0
		.amdhsa_system_vgpr_workitem_id 0
		.amdhsa_next_free_vgpr 11
		.amdhsa_next_free_sgpr 16
		.amdhsa_reserve_vcc 0
		.amdhsa_float_round_mode_32 0
		.amdhsa_float_round_mode_16_64 0
		.amdhsa_float_denorm_mode_32 3
		.amdhsa_float_denorm_mode_16_64 3
		.amdhsa_dx10_clamp 1
		.amdhsa_ieee_mode 1
		.amdhsa_fp16_overflow 0
		.amdhsa_workgroup_processor_mode 1
		.amdhsa_memory_ordered 1
		.amdhsa_forward_progress 0
		.amdhsa_shared_vgpr_count 0
		.amdhsa_exception_fp_ieee_invalid_op 0
		.amdhsa_exception_fp_denorm_src 0
		.amdhsa_exception_fp_ieee_div_zero 0
		.amdhsa_exception_fp_ieee_overflow 0
		.amdhsa_exception_fp_ieee_underflow 0
		.amdhsa_exception_fp_ieee_inexact 0
		.amdhsa_exception_int_div_zero 0
	.end_amdhsa_kernel
	.section	.text._Z6kernelI6reduceILN6hipcub20BlockReduceAlgorithmE1EEaLj256ELj8ELj100EEvPKT0_PS4_,"axG",@progbits,_Z6kernelI6reduceILN6hipcub20BlockReduceAlgorithmE1EEaLj256ELj8ELj100EEvPKT0_PS4_,comdat
.Lfunc_end130:
	.size	_Z6kernelI6reduceILN6hipcub20BlockReduceAlgorithmE1EEaLj256ELj8ELj100EEvPKT0_PS4_, .Lfunc_end130-_Z6kernelI6reduceILN6hipcub20BlockReduceAlgorithmE1EEaLj256ELj8ELj100EEvPKT0_PS4_
                                        ; -- End function
	.section	.AMDGPU.csdata,"",@progbits
; Kernel info:
; codeLenInByte = 560
; NumSgprs: 16
; NumVgprs: 11
; ScratchSize: 0
; MemoryBound: 0
; FloatMode: 240
; IeeeMode: 1
; LDSByteSize: 256 bytes/workgroup (compile time only)
; SGPRBlocks: 1
; VGPRBlocks: 1
; NumSGPRsForWavesPerEU: 16
; NumVGPRsForWavesPerEU: 11
; Occupancy: 16
; WaveLimiterHint : 0
; COMPUTE_PGM_RSRC2:SCRATCH_EN: 0
; COMPUTE_PGM_RSRC2:USER_SGPR: 15
; COMPUTE_PGM_RSRC2:TRAP_HANDLER: 0
; COMPUTE_PGM_RSRC2:TGID_X_EN: 1
; COMPUTE_PGM_RSRC2:TGID_Y_EN: 0
; COMPUTE_PGM_RSRC2:TGID_Z_EN: 0
; COMPUTE_PGM_RSRC2:TIDIG_COMP_CNT: 0
	.section	.text._Z6kernelI6reduceILN6hipcub20BlockReduceAlgorithmE1EEaLj256ELj11ELj100EEvPKT0_PS4_,"axG",@progbits,_Z6kernelI6reduceILN6hipcub20BlockReduceAlgorithmE1EEaLj256ELj11ELj100EEvPKT0_PS4_,comdat
	.protected	_Z6kernelI6reduceILN6hipcub20BlockReduceAlgorithmE1EEaLj256ELj11ELj100EEvPKT0_PS4_ ; -- Begin function _Z6kernelI6reduceILN6hipcub20BlockReduceAlgorithmE1EEaLj256ELj11ELj100EEvPKT0_PS4_
	.globl	_Z6kernelI6reduceILN6hipcub20BlockReduceAlgorithmE1EEaLj256ELj11ELj100EEvPKT0_PS4_
	.p2align	8
	.type	_Z6kernelI6reduceILN6hipcub20BlockReduceAlgorithmE1EEaLj256ELj11ELj100EEvPKT0_PS4_,@function
_Z6kernelI6reduceILN6hipcub20BlockReduceAlgorithmE1EEaLj256ELj11ELj100EEvPKT0_PS4_: ; @_Z6kernelI6reduceILN6hipcub20BlockReduceAlgorithmE1EEaLj256ELj11ELj100EEvPKT0_PS4_
; %bb.0:
	s_load_b32 s2, s[0:1], 0x1c
	s_waitcnt lgkmcnt(0)
	s_and_b32 s2, s2, 0xffff
	s_delay_alu instid0(SALU_CYCLE_1) | instskip(SKIP_1) | instid1(VALU_DEP_1)
	v_mad_u64_u32 v[1:2], null, s15, s2, v[0:1]
	s_load_b128 s[0:3], s[0:1], 0x0
	v_mul_lo_u32 v1, v1, 11
	s_delay_alu instid0(VALU_DEP_1)
	v_add_nc_u32_e32 v3, 5, v1
	v_add_nc_u32_e32 v4, 7, v1
	;; [unrolled: 1-line block ×5, first 2 shown]
	s_waitcnt lgkmcnt(0)
	s_clause 0x1
	global_load_u8 v8, v3, s[0:1]
	global_load_u8 v4, v4, s[0:1]
	v_add_nc_u32_e32 v7, 6, v1
	v_add_nc_u32_e32 v3, 2, v1
	s_clause 0x5
	global_load_u8 v9, v2, s[0:1]
	global_load_u8 v5, v5, s[0:1]
	;; [unrolled: 1-line block ×6, first 2 shown]
	v_add_nc_u32_e32 v2, 8, v1
	v_add_nc_u32_e32 v3, 9, v1
	;; [unrolled: 1-line block ×3, first 2 shown]
	s_clause 0x2
	global_load_u8 v1, v2, s[0:1]
	global_load_u8 v2, v3, s[0:1]
	;; [unrolled: 1-line block ×3, first 2 shown]
	s_movk_i32 s0, 0x64
	s_waitcnt vmcnt(8)
	v_lshlrev_b16 v9, 8, v9
	v_lshlrev_b16 v8, 8, v8
	;; [unrolled: 1-line block ×3, first 2 shown]
	s_waitcnt vmcnt(7)
	v_lshlrev_b16 v5, 8, v5
	s_waitcnt vmcnt(6)
	v_or_b32_e32 v6, v6, v8
	s_waitcnt vmcnt(5)
	v_or_b32_e32 v4, v7, v4
	;; [unrolled: 2-line block ×4, first 2 shown]
	v_mul_u32_u24_e32 v10, 7, v0
	v_and_b32_e32 v6, 0xffff, v6
	v_lshlrev_b32_e32 v4, 16, v4
	v_and_b32_e32 v7, 0xffff, v7
	v_dual_mov_b32 v5, 0x7c :: v_dual_lshlrev_b32 v8, 16, v5
	v_add_nc_u32_e32 v10, v0, v10
	s_delay_alu instid0(VALU_DEP_4) | instskip(NEXT) | instid1(VALU_DEP_3)
	v_or_b32_e32 v4, v6, v4
	v_or_b32_e32 v6, v7, v8
	s_delay_alu instid0(VALU_DEP_2)
	v_lshrrev_b32_e32 v7, 16, v4
	v_lshrrev_b32_e32 v8, 8, v4
	;; [unrolled: 1-line block ×3, first 2 shown]
.LBB131_1:                              ; =>This Inner Loop Header: Depth=1
	s_delay_alu instid0(VALU_DEP_1) | instskip(SKIP_3) | instid1(SALU_CYCLE_1)
	v_lshrrev_b32_e32 v11, 8, v6
	v_lshrrev_b32_e32 v12, 16, v6
	;; [unrolled: 1-line block ×3, first 2 shown]
	s_add_i32 s0, s0, -1
	s_cmp_eq_u32 s0, 0
	v_add_nc_u16 v11, v11, v6
	s_delay_alu instid0(VALU_DEP_1) | instskip(NEXT) | instid1(VALU_DEP_1)
	v_add_nc_u16 v11, v11, v12
	v_add_nc_u16 v11, v11, v13
	s_delay_alu instid0(VALU_DEP_1) | instskip(NEXT) | instid1(VALU_DEP_1)
	v_add_nc_u16 v11, v11, v4
	;; [unrolled: 3-line block ×3, first 2 shown]
	v_add_nc_u16 v11, v11, v9
	s_waitcnt vmcnt(2)
	s_delay_alu instid0(VALU_DEP_1) | instskip(SKIP_1) | instid1(VALU_DEP_1)
	v_add_nc_u16 v11, v11, v1
	s_waitcnt vmcnt(1)
	v_add_nc_u16 v11, v11, v2
	s_waitcnt vmcnt(0)
	s_delay_alu instid0(VALU_DEP_1)
	v_add_nc_u16 v11, v11, v3
	ds_store_b8 v0, v11
	s_waitcnt lgkmcnt(0)
	s_barrier
	buffer_gl0_inv
	ds_load_b64 v[11:12], v10
	s_waitcnt lgkmcnt(0)
	v_lshrrev_b32_e32 v13, 8, v11
	v_lshrrev_b32_e32 v14, 16, v11
	s_delay_alu instid0(VALU_DEP_2) | instskip(SKIP_1) | instid1(VALU_DEP_2)
	v_add_nc_u16 v13, v13, v11
	v_lshrrev_b32_e32 v11, 24, v11
	v_add_nc_u16 v13, v13, v14
	v_lshrrev_b32_e32 v14, 16, v12
	s_delay_alu instid0(VALU_DEP_2) | instskip(SKIP_1) | instid1(VALU_DEP_2)
	v_add_nc_u16 v11, v13, v11
	v_lshrrev_b32_e32 v13, 8, v12
	v_add_nc_u16 v11, v11, v12
	v_lshrrev_b32_e32 v12, 24, v12
	s_delay_alu instid0(VALU_DEP_2) | instskip(NEXT) | instid1(VALU_DEP_1)
	v_add_nc_u16 v11, v11, v13
	v_add_nc_u16 v11, v11, v14
	s_delay_alu instid0(VALU_DEP_1) | instskip(NEXT) | instid1(VALU_DEP_1)
	v_add_nc_u16 v11, v11, v12
	v_and_b32_e32 v12, 0xff, v11
	s_delay_alu instid0(VALU_DEP_1) | instskip(NEXT) | instid1(VALU_DEP_1)
	v_mov_b32_dpp v12, v12 quad_perm:[1,0,3,2] row_mask:0xf bank_mask:0xf
	v_add_nc_u16 v11, v11, v12
	s_delay_alu instid0(VALU_DEP_1) | instskip(NEXT) | instid1(VALU_DEP_1)
	v_and_b32_e32 v12, 0xff, v11
	v_mov_b32_dpp v12, v12 quad_perm:[2,3,0,1] row_mask:0xf bank_mask:0xf
	s_delay_alu instid0(VALU_DEP_1) | instskip(NEXT) | instid1(VALU_DEP_1)
	v_add_nc_u16 v11, v11, v12
	v_and_b32_e32 v12, 0xff, v11
	s_delay_alu instid0(VALU_DEP_1) | instskip(NEXT) | instid1(VALU_DEP_1)
	v_mov_b32_dpp v12, v12 row_ror:4 row_mask:0xf bank_mask:0xf
	v_add_nc_u16 v11, v11, v12
	s_delay_alu instid0(VALU_DEP_1) | instskip(NEXT) | instid1(VALU_DEP_1)
	v_and_b32_e32 v12, 0xff, v11
	v_mov_b32_dpp v12, v12 row_ror:8 row_mask:0xf bank_mask:0xf
	s_delay_alu instid0(VALU_DEP_1) | instskip(NEXT) | instid1(VALU_DEP_1)
	v_add_nc_u16 v11, v11, v12
	v_and_b32_e32 v12, 0xff, v11
	ds_swizzle_b32 v12, v12 offset:swizzle(BROADCAST,32,15)
	s_waitcnt lgkmcnt(0)
	v_add_nc_u16 v11, v11, v12
	s_delay_alu instid0(VALU_DEP_1)
	v_and_b32_e32 v11, 0xff, v11
	ds_bpermute_b32 v11, v5, v11
	s_waitcnt lgkmcnt(0)
	v_perm_b32 v6, v11, v6, 0x3020104
	s_cbranch_scc0 .LBB131_1
; %bb.2:
	s_mov_b32 s0, exec_lo
	v_cmpx_eq_u32_e32 0, v0
	s_cbranch_execz .LBB131_4
; %bb.3:
	v_mov_b32_e32 v0, s15
	global_store_b8 v0, v11, s[2:3]
.LBB131_4:
	s_nop 0
	s_sendmsg sendmsg(MSG_DEALLOC_VGPRS)
	s_endpgm
	.section	.rodata,"a",@progbits
	.p2align	6, 0x0
	.amdhsa_kernel _Z6kernelI6reduceILN6hipcub20BlockReduceAlgorithmE1EEaLj256ELj11ELj100EEvPKT0_PS4_
		.amdhsa_group_segment_fixed_size 256
		.amdhsa_private_segment_fixed_size 0
		.amdhsa_kernarg_size 272
		.amdhsa_user_sgpr_count 15
		.amdhsa_user_sgpr_dispatch_ptr 0
		.amdhsa_user_sgpr_queue_ptr 0
		.amdhsa_user_sgpr_kernarg_segment_ptr 1
		.amdhsa_user_sgpr_dispatch_id 0
		.amdhsa_user_sgpr_private_segment_size 0
		.amdhsa_wavefront_size32 1
		.amdhsa_uses_dynamic_stack 0
		.amdhsa_enable_private_segment 0
		.amdhsa_system_sgpr_workgroup_id_x 1
		.amdhsa_system_sgpr_workgroup_id_y 0
		.amdhsa_system_sgpr_workgroup_id_z 0
		.amdhsa_system_sgpr_workgroup_info 0
		.amdhsa_system_vgpr_workitem_id 0
		.amdhsa_next_free_vgpr 15
		.amdhsa_next_free_sgpr 16
		.amdhsa_reserve_vcc 0
		.amdhsa_float_round_mode_32 0
		.amdhsa_float_round_mode_16_64 0
		.amdhsa_float_denorm_mode_32 3
		.amdhsa_float_denorm_mode_16_64 3
		.amdhsa_dx10_clamp 1
		.amdhsa_ieee_mode 1
		.amdhsa_fp16_overflow 0
		.amdhsa_workgroup_processor_mode 1
		.amdhsa_memory_ordered 1
		.amdhsa_forward_progress 0
		.amdhsa_shared_vgpr_count 0
		.amdhsa_exception_fp_ieee_invalid_op 0
		.amdhsa_exception_fp_denorm_src 0
		.amdhsa_exception_fp_ieee_div_zero 0
		.amdhsa_exception_fp_ieee_overflow 0
		.amdhsa_exception_fp_ieee_underflow 0
		.amdhsa_exception_fp_ieee_inexact 0
		.amdhsa_exception_int_div_zero 0
	.end_amdhsa_kernel
	.section	.text._Z6kernelI6reduceILN6hipcub20BlockReduceAlgorithmE1EEaLj256ELj11ELj100EEvPKT0_PS4_,"axG",@progbits,_Z6kernelI6reduceILN6hipcub20BlockReduceAlgorithmE1EEaLj256ELj11ELj100EEvPKT0_PS4_,comdat
.Lfunc_end131:
	.size	_Z6kernelI6reduceILN6hipcub20BlockReduceAlgorithmE1EEaLj256ELj11ELj100EEvPKT0_PS4_, .Lfunc_end131-_Z6kernelI6reduceILN6hipcub20BlockReduceAlgorithmE1EEaLj256ELj11ELj100EEvPKT0_PS4_
                                        ; -- End function
	.section	.AMDGPU.csdata,"",@progbits
; Kernel info:
; codeLenInByte = 832
; NumSgprs: 16
; NumVgprs: 15
; ScratchSize: 0
; MemoryBound: 0
; FloatMode: 240
; IeeeMode: 1
; LDSByteSize: 256 bytes/workgroup (compile time only)
; SGPRBlocks: 1
; VGPRBlocks: 1
; NumSGPRsForWavesPerEU: 16
; NumVGPRsForWavesPerEU: 15
; Occupancy: 16
; WaveLimiterHint : 0
; COMPUTE_PGM_RSRC2:SCRATCH_EN: 0
; COMPUTE_PGM_RSRC2:USER_SGPR: 15
; COMPUTE_PGM_RSRC2:TRAP_HANDLER: 0
; COMPUTE_PGM_RSRC2:TGID_X_EN: 1
; COMPUTE_PGM_RSRC2:TGID_Y_EN: 0
; COMPUTE_PGM_RSRC2:TGID_Z_EN: 0
; COMPUTE_PGM_RSRC2:TIDIG_COMP_CNT: 0
	.section	.text._Z6kernelI6reduceILN6hipcub20BlockReduceAlgorithmE1EEaLj256ELj16ELj100EEvPKT0_PS4_,"axG",@progbits,_Z6kernelI6reduceILN6hipcub20BlockReduceAlgorithmE1EEaLj256ELj16ELj100EEvPKT0_PS4_,comdat
	.protected	_Z6kernelI6reduceILN6hipcub20BlockReduceAlgorithmE1EEaLj256ELj16ELj100EEvPKT0_PS4_ ; -- Begin function _Z6kernelI6reduceILN6hipcub20BlockReduceAlgorithmE1EEaLj256ELj16ELj100EEvPKT0_PS4_
	.globl	_Z6kernelI6reduceILN6hipcub20BlockReduceAlgorithmE1EEaLj256ELj16ELj100EEvPKT0_PS4_
	.p2align	8
	.type	_Z6kernelI6reduceILN6hipcub20BlockReduceAlgorithmE1EEaLj256ELj16ELj100EEvPKT0_PS4_,@function
_Z6kernelI6reduceILN6hipcub20BlockReduceAlgorithmE1EEaLj256ELj16ELj100EEvPKT0_PS4_: ; @_Z6kernelI6reduceILN6hipcub20BlockReduceAlgorithmE1EEaLj256ELj16ELj100EEvPKT0_PS4_
; %bb.0:
	s_clause 0x1
	s_load_b32 s4, s[0:1], 0x1c
	s_load_b128 s[0:3], s[0:1], 0x0
	v_mul_u32_u24_e32 v9, 7, v0
	v_mov_b32_e32 v5, 0x7c
	s_delay_alu instid0(VALU_DEP_2) | instskip(SKIP_2) | instid1(SALU_CYCLE_1)
	v_add_nc_u32_e32 v9, v0, v9
	s_waitcnt lgkmcnt(0)
	s_and_b32 s4, s4, 0xffff
	s_mul_i32 s4, s15, s4
	s_delay_alu instid0(SALU_CYCLE_1)
	v_add_lshl_u32 v1, s4, v0, 4
	global_load_b128 v[1:4], v1, s[0:1]
	s_movk_i32 s0, 0x64
	s_waitcnt vmcnt(0)
	v_lshrrev_b32_e32 v6, 8, v3
	v_lshrrev_b32_e32 v7, 16, v3
	;; [unrolled: 1-line block ×3, first 2 shown]
.LBB132_1:                              ; =>This Inner Loop Header: Depth=1
	s_delay_alu instid0(VALU_DEP_1)
	v_lshrrev_b32_e32 v14, 8, v1
	v_lshrrev_b32_e32 v15, 16, v1
	;; [unrolled: 1-line block ×5, first 2 shown]
	v_add_nc_u16 v14, v14, v1
	v_lshrrev_b32_e32 v17, 24, v2
	v_lshrrev_b32_e32 v13, 8, v4
	;; [unrolled: 1-line block ×4, first 2 shown]
	v_add_nc_u16 v14, v14, v15
	s_add_i32 s0, s0, -1
	s_delay_alu instid0(SALU_CYCLE_1) | instskip(NEXT) | instid1(VALU_DEP_1)
	s_cmp_eq_u32 s0, 0
	v_add_nc_u16 v14, v14, v16
	s_delay_alu instid0(VALU_DEP_1) | instskip(SKIP_1) | instid1(VALU_DEP_2)
	v_add_nc_u16 v14, v14, v2
	v_perm_b32 v2, v2, v2, 0x3060504
	v_add_nc_u16 v11, v14, v11
	s_delay_alu instid0(VALU_DEP_1) | instskip(NEXT) | instid1(VALU_DEP_1)
	v_add_nc_u16 v10, v11, v10
	v_add_nc_u16 v10, v10, v17
	s_delay_alu instid0(VALU_DEP_1) | instskip(NEXT) | instid1(VALU_DEP_1)
	v_add_nc_u16 v10, v10, v3
	;; [unrolled: 3-line block ×3, first 2 shown]
	v_add_nc_u16 v10, v10, v8
	s_delay_alu instid0(VALU_DEP_1) | instskip(SKIP_1) | instid1(VALU_DEP_2)
	v_add_nc_u16 v10, v10, v4
	v_perm_b32 v4, v4, v4, 0x3060504
	v_add_nc_u16 v10, v10, v13
	s_delay_alu instid0(VALU_DEP_1) | instskip(NEXT) | instid1(VALU_DEP_1)
	v_add_nc_u16 v10, v10, v12
	v_add_nc_u16 v10, v10, v18
	ds_store_b8 v0, v10
	s_waitcnt lgkmcnt(0)
	s_barrier
	buffer_gl0_inv
	ds_load_b64 v[10:11], v9
	s_waitcnt lgkmcnt(0)
	v_lshrrev_b32_e32 v12, 8, v10
	v_lshrrev_b32_e32 v13, 16, v10
	s_delay_alu instid0(VALU_DEP_2) | instskip(SKIP_1) | instid1(VALU_DEP_2)
	v_add_nc_u16 v12, v12, v10
	v_lshrrev_b32_e32 v10, 24, v10
	v_add_nc_u16 v12, v12, v13
	v_lshrrev_b32_e32 v13, 16, v11
	s_delay_alu instid0(VALU_DEP_2) | instskip(SKIP_1) | instid1(VALU_DEP_2)
	v_add_nc_u16 v10, v12, v10
	v_lshrrev_b32_e32 v12, 8, v11
	v_add_nc_u16 v10, v10, v11
	v_lshrrev_b32_e32 v11, 24, v11
	s_delay_alu instid0(VALU_DEP_2) | instskip(NEXT) | instid1(VALU_DEP_1)
	v_add_nc_u16 v10, v10, v12
	v_add_nc_u16 v10, v10, v13
	s_delay_alu instid0(VALU_DEP_1) | instskip(NEXT) | instid1(VALU_DEP_1)
	v_add_nc_u16 v10, v10, v11
	v_and_b32_e32 v11, 0xff, v10
	s_delay_alu instid0(VALU_DEP_1) | instskip(NEXT) | instid1(VALU_DEP_1)
	v_mov_b32_dpp v11, v11 quad_perm:[1,0,3,2] row_mask:0xf bank_mask:0xf
	v_add_nc_u16 v10, v10, v11
	s_delay_alu instid0(VALU_DEP_1) | instskip(NEXT) | instid1(VALU_DEP_1)
	v_and_b32_e32 v11, 0xff, v10
	v_mov_b32_dpp v11, v11 quad_perm:[2,3,0,1] row_mask:0xf bank_mask:0xf
	s_delay_alu instid0(VALU_DEP_1) | instskip(NEXT) | instid1(VALU_DEP_1)
	v_add_nc_u16 v10, v10, v11
	v_and_b32_e32 v11, 0xff, v10
	s_delay_alu instid0(VALU_DEP_1) | instskip(NEXT) | instid1(VALU_DEP_1)
	v_mov_b32_dpp v11, v11 row_ror:4 row_mask:0xf bank_mask:0xf
	v_add_nc_u16 v10, v10, v11
	s_delay_alu instid0(VALU_DEP_1) | instskip(NEXT) | instid1(VALU_DEP_1)
	v_and_b32_e32 v11, 0xff, v10
	v_mov_b32_dpp v11, v11 row_ror:8 row_mask:0xf bank_mask:0xf
	s_delay_alu instid0(VALU_DEP_1) | instskip(NEXT) | instid1(VALU_DEP_1)
	v_add_nc_u16 v10, v10, v11
	v_and_b32_e32 v11, 0xff, v10
	ds_swizzle_b32 v11, v11 offset:swizzle(BROADCAST,32,15)
	s_waitcnt lgkmcnt(0)
	v_add_nc_u16 v10, v10, v11
	s_delay_alu instid0(VALU_DEP_1)
	v_and_b32_e32 v10, 0xff, v10
	ds_bpermute_b32 v10, v5, v10
	s_waitcnt lgkmcnt(0)
	v_perm_b32 v1, v10, v1, 0x3020104
	s_cbranch_scc0 .LBB132_1
; %bb.2:
	s_mov_b32 s0, exec_lo
	v_cmpx_eq_u32_e32 0, v0
	s_cbranch_execz .LBB132_4
; %bb.3:
	v_mov_b32_e32 v0, s15
	global_store_b8 v0, v10, s[2:3]
.LBB132_4:
	s_nop 0
	s_sendmsg sendmsg(MSG_DEALLOC_VGPRS)
	s_endpgm
	.section	.rodata,"a",@progbits
	.p2align	6, 0x0
	.amdhsa_kernel _Z6kernelI6reduceILN6hipcub20BlockReduceAlgorithmE1EEaLj256ELj16ELj100EEvPKT0_PS4_
		.amdhsa_group_segment_fixed_size 256
		.amdhsa_private_segment_fixed_size 0
		.amdhsa_kernarg_size 272
		.amdhsa_user_sgpr_count 15
		.amdhsa_user_sgpr_dispatch_ptr 0
		.amdhsa_user_sgpr_queue_ptr 0
		.amdhsa_user_sgpr_kernarg_segment_ptr 1
		.amdhsa_user_sgpr_dispatch_id 0
		.amdhsa_user_sgpr_private_segment_size 0
		.amdhsa_wavefront_size32 1
		.amdhsa_uses_dynamic_stack 0
		.amdhsa_enable_private_segment 0
		.amdhsa_system_sgpr_workgroup_id_x 1
		.amdhsa_system_sgpr_workgroup_id_y 0
		.amdhsa_system_sgpr_workgroup_id_z 0
		.amdhsa_system_sgpr_workgroup_info 0
		.amdhsa_system_vgpr_workitem_id 0
		.amdhsa_next_free_vgpr 19
		.amdhsa_next_free_sgpr 16
		.amdhsa_reserve_vcc 0
		.amdhsa_float_round_mode_32 0
		.amdhsa_float_round_mode_16_64 0
		.amdhsa_float_denorm_mode_32 3
		.amdhsa_float_denorm_mode_16_64 3
		.amdhsa_dx10_clamp 1
		.amdhsa_ieee_mode 1
		.amdhsa_fp16_overflow 0
		.amdhsa_workgroup_processor_mode 1
		.amdhsa_memory_ordered 1
		.amdhsa_forward_progress 0
		.amdhsa_shared_vgpr_count 0
		.amdhsa_exception_fp_ieee_invalid_op 0
		.amdhsa_exception_fp_denorm_src 0
		.amdhsa_exception_fp_ieee_div_zero 0
		.amdhsa_exception_fp_ieee_overflow 0
		.amdhsa_exception_fp_ieee_underflow 0
		.amdhsa_exception_fp_ieee_inexact 0
		.amdhsa_exception_int_div_zero 0
	.end_amdhsa_kernel
	.section	.text._Z6kernelI6reduceILN6hipcub20BlockReduceAlgorithmE1EEaLj256ELj16ELj100EEvPKT0_PS4_,"axG",@progbits,_Z6kernelI6reduceILN6hipcub20BlockReduceAlgorithmE1EEaLj256ELj16ELj100EEvPKT0_PS4_,comdat
.Lfunc_end132:
	.size	_Z6kernelI6reduceILN6hipcub20BlockReduceAlgorithmE1EEaLj256ELj16ELj100EEvPKT0_PS4_, .Lfunc_end132-_Z6kernelI6reduceILN6hipcub20BlockReduceAlgorithmE1EEaLj256ELj16ELj100EEvPKT0_PS4_
                                        ; -- End function
	.section	.AMDGPU.csdata,"",@progbits
; Kernel info:
; codeLenInByte = 672
; NumSgprs: 16
; NumVgprs: 19
; ScratchSize: 0
; MemoryBound: 0
; FloatMode: 240
; IeeeMode: 1
; LDSByteSize: 256 bytes/workgroup (compile time only)
; SGPRBlocks: 1
; VGPRBlocks: 2
; NumSGPRsForWavesPerEU: 16
; NumVGPRsForWavesPerEU: 19
; Occupancy: 16
; WaveLimiterHint : 0
; COMPUTE_PGM_RSRC2:SCRATCH_EN: 0
; COMPUTE_PGM_RSRC2:USER_SGPR: 15
; COMPUTE_PGM_RSRC2:TRAP_HANDLER: 0
; COMPUTE_PGM_RSRC2:TGID_X_EN: 1
; COMPUTE_PGM_RSRC2:TGID_Y_EN: 0
; COMPUTE_PGM_RSRC2:TGID_Z_EN: 0
; COMPUTE_PGM_RSRC2:TIDIG_COMP_CNT: 0
	.section	.text._Z6kernelI6reduceILN6hipcub20BlockReduceAlgorithmE1EEhLj256ELj1ELj100EEvPKT0_PS4_,"axG",@progbits,_Z6kernelI6reduceILN6hipcub20BlockReduceAlgorithmE1EEhLj256ELj1ELj100EEvPKT0_PS4_,comdat
	.protected	_Z6kernelI6reduceILN6hipcub20BlockReduceAlgorithmE1EEhLj256ELj1ELj100EEvPKT0_PS4_ ; -- Begin function _Z6kernelI6reduceILN6hipcub20BlockReduceAlgorithmE1EEhLj256ELj1ELj100EEvPKT0_PS4_
	.globl	_Z6kernelI6reduceILN6hipcub20BlockReduceAlgorithmE1EEhLj256ELj1ELj100EEvPKT0_PS4_
	.p2align	8
	.type	_Z6kernelI6reduceILN6hipcub20BlockReduceAlgorithmE1EEhLj256ELj1ELj100EEvPKT0_PS4_,@function
_Z6kernelI6reduceILN6hipcub20BlockReduceAlgorithmE1EEhLj256ELj1ELj100EEvPKT0_PS4_: ; @_Z6kernelI6reduceILN6hipcub20BlockReduceAlgorithmE1EEhLj256ELj1ELj100EEvPKT0_PS4_
; %bb.0:
	s_clause 0x1
	s_load_b32 s4, s[0:1], 0x1c
	s_load_b128 s[0:3], s[0:1], 0x0
	s_waitcnt lgkmcnt(0)
	s_and_b32 s4, s4, 0xffff
	s_delay_alu instid0(SALU_CYCLE_1) | instskip(SKIP_1) | instid1(VALU_DEP_1)
	v_mad_u64_u32 v[1:2], null, s15, s4, v[0:1]
	v_mul_u32_u24_e32 v2, 7, v0
	v_add_nc_u32_e32 v2, v0, v2
	global_load_u8 v3, v1, s[0:1]
	v_mov_b32_e32 v1, 0x7c
	s_movk_i32 s0, 0x64
.LBB133_1:                              ; =>This Inner Loop Header: Depth=1
	s_waitcnt vmcnt(0) lgkmcnt(0)
	ds_store_b8 v0, v3
	s_waitcnt lgkmcnt(0)
	s_barrier
	buffer_gl0_inv
	ds_load_b64 v[3:4], v2
	s_add_i32 s0, s0, -1
	s_delay_alu instid0(SALU_CYCLE_1) | instskip(SKIP_3) | instid1(VALU_DEP_2)
	s_cmp_eq_u32 s0, 0
	s_waitcnt lgkmcnt(0)
	v_lshrrev_b32_e32 v5, 8, v3
	v_lshrrev_b32_e32 v6, 16, v3
	v_add_nc_u16 v5, v5, v3
	v_lshrrev_b32_e32 v3, 24, v3
	s_delay_alu instid0(VALU_DEP_2) | instskip(SKIP_1) | instid1(VALU_DEP_2)
	v_add_nc_u16 v5, v5, v6
	v_lshrrev_b32_e32 v6, 16, v4
	v_add_nc_u16 v3, v5, v3
	v_lshrrev_b32_e32 v5, 8, v4
	s_delay_alu instid0(VALU_DEP_2) | instskip(SKIP_1) | instid1(VALU_DEP_2)
	v_add_nc_u16 v3, v3, v4
	v_lshrrev_b32_e32 v4, 24, v4
	v_add_nc_u16 v3, v3, v5
	s_delay_alu instid0(VALU_DEP_1) | instskip(NEXT) | instid1(VALU_DEP_1)
	v_add_nc_u16 v3, v3, v6
	v_add_nc_u16 v3, v3, v4
	s_delay_alu instid0(VALU_DEP_1) | instskip(NEXT) | instid1(VALU_DEP_1)
	v_and_b32_e32 v4, 0xff, v3
	v_mov_b32_dpp v4, v4 quad_perm:[1,0,3,2] row_mask:0xf bank_mask:0xf
	s_delay_alu instid0(VALU_DEP_1) | instskip(NEXT) | instid1(VALU_DEP_1)
	v_add_nc_u16 v3, v3, v4
	v_and_b32_e32 v4, 0xff, v3
	s_delay_alu instid0(VALU_DEP_1) | instskip(NEXT) | instid1(VALU_DEP_1)
	v_mov_b32_dpp v4, v4 quad_perm:[2,3,0,1] row_mask:0xf bank_mask:0xf
	v_add_nc_u16 v3, v3, v4
	s_delay_alu instid0(VALU_DEP_1) | instskip(NEXT) | instid1(VALU_DEP_1)
	v_and_b32_e32 v4, 0xff, v3
	v_mov_b32_dpp v4, v4 row_ror:4 row_mask:0xf bank_mask:0xf
	s_delay_alu instid0(VALU_DEP_1) | instskip(NEXT) | instid1(VALU_DEP_1)
	v_add_nc_u16 v3, v3, v4
	v_and_b32_e32 v4, 0xff, v3
	s_delay_alu instid0(VALU_DEP_1) | instskip(NEXT) | instid1(VALU_DEP_1)
	v_mov_b32_dpp v4, v4 row_ror:8 row_mask:0xf bank_mask:0xf
	v_add_nc_u16 v3, v3, v4
	s_delay_alu instid0(VALU_DEP_1) | instskip(SKIP_3) | instid1(VALU_DEP_1)
	v_and_b32_e32 v4, 0xff, v3
	ds_swizzle_b32 v4, v4 offset:swizzle(BROADCAST,32,15)
	s_waitcnt lgkmcnt(0)
	v_add_nc_u16 v3, v3, v4
	v_and_b32_e32 v3, 0xff, v3
	ds_bpermute_b32 v3, v1, v3
	s_cbranch_scc0 .LBB133_1
; %bb.2:
	s_mov_b32 s0, exec_lo
	v_cmpx_eq_u32_e32 0, v0
	s_cbranch_execz .LBB133_4
; %bb.3:
	v_mov_b32_e32 v0, s15
	s_waitcnt lgkmcnt(0)
	global_store_b8 v0, v3, s[2:3]
.LBB133_4:
	s_nop 0
	s_sendmsg sendmsg(MSG_DEALLOC_VGPRS)
	s_endpgm
	.section	.rodata,"a",@progbits
	.p2align	6, 0x0
	.amdhsa_kernel _Z6kernelI6reduceILN6hipcub20BlockReduceAlgorithmE1EEhLj256ELj1ELj100EEvPKT0_PS4_
		.amdhsa_group_segment_fixed_size 256
		.amdhsa_private_segment_fixed_size 0
		.amdhsa_kernarg_size 272
		.amdhsa_user_sgpr_count 15
		.amdhsa_user_sgpr_dispatch_ptr 0
		.amdhsa_user_sgpr_queue_ptr 0
		.amdhsa_user_sgpr_kernarg_segment_ptr 1
		.amdhsa_user_sgpr_dispatch_id 0
		.amdhsa_user_sgpr_private_segment_size 0
		.amdhsa_wavefront_size32 1
		.amdhsa_uses_dynamic_stack 0
		.amdhsa_enable_private_segment 0
		.amdhsa_system_sgpr_workgroup_id_x 1
		.amdhsa_system_sgpr_workgroup_id_y 0
		.amdhsa_system_sgpr_workgroup_id_z 0
		.amdhsa_system_sgpr_workgroup_info 0
		.amdhsa_system_vgpr_workitem_id 0
		.amdhsa_next_free_vgpr 7
		.amdhsa_next_free_sgpr 16
		.amdhsa_reserve_vcc 0
		.amdhsa_float_round_mode_32 0
		.amdhsa_float_round_mode_16_64 0
		.amdhsa_float_denorm_mode_32 3
		.amdhsa_float_denorm_mode_16_64 3
		.amdhsa_dx10_clamp 1
		.amdhsa_ieee_mode 1
		.amdhsa_fp16_overflow 0
		.amdhsa_workgroup_processor_mode 1
		.amdhsa_memory_ordered 1
		.amdhsa_forward_progress 0
		.amdhsa_shared_vgpr_count 0
		.amdhsa_exception_fp_ieee_invalid_op 0
		.amdhsa_exception_fp_denorm_src 0
		.amdhsa_exception_fp_ieee_div_zero 0
		.amdhsa_exception_fp_ieee_overflow 0
		.amdhsa_exception_fp_ieee_underflow 0
		.amdhsa_exception_fp_ieee_inexact 0
		.amdhsa_exception_int_div_zero 0
	.end_amdhsa_kernel
	.section	.text._Z6kernelI6reduceILN6hipcub20BlockReduceAlgorithmE1EEhLj256ELj1ELj100EEvPKT0_PS4_,"axG",@progbits,_Z6kernelI6reduceILN6hipcub20BlockReduceAlgorithmE1EEhLj256ELj1ELj100EEvPKT0_PS4_,comdat
.Lfunc_end133:
	.size	_Z6kernelI6reduceILN6hipcub20BlockReduceAlgorithmE1EEhLj256ELj1ELj100EEvPKT0_PS4_, .Lfunc_end133-_Z6kernelI6reduceILN6hipcub20BlockReduceAlgorithmE1EEhLj256ELj1ELj100EEvPKT0_PS4_
                                        ; -- End function
	.section	.AMDGPU.csdata,"",@progbits
; Kernel info:
; codeLenInByte = 428
; NumSgprs: 16
; NumVgprs: 7
; ScratchSize: 0
; MemoryBound: 0
; FloatMode: 240
; IeeeMode: 1
; LDSByteSize: 256 bytes/workgroup (compile time only)
; SGPRBlocks: 1
; VGPRBlocks: 0
; NumSGPRsForWavesPerEU: 16
; NumVGPRsForWavesPerEU: 7
; Occupancy: 16
; WaveLimiterHint : 0
; COMPUTE_PGM_RSRC2:SCRATCH_EN: 0
; COMPUTE_PGM_RSRC2:USER_SGPR: 15
; COMPUTE_PGM_RSRC2:TRAP_HANDLER: 0
; COMPUTE_PGM_RSRC2:TGID_X_EN: 1
; COMPUTE_PGM_RSRC2:TGID_Y_EN: 0
; COMPUTE_PGM_RSRC2:TGID_Z_EN: 0
; COMPUTE_PGM_RSRC2:TIDIG_COMP_CNT: 0
	.section	.text._Z6kernelI6reduceILN6hipcub20BlockReduceAlgorithmE1EEhLj256ELj2ELj100EEvPKT0_PS4_,"axG",@progbits,_Z6kernelI6reduceILN6hipcub20BlockReduceAlgorithmE1EEhLj256ELj2ELj100EEvPKT0_PS4_,comdat
	.protected	_Z6kernelI6reduceILN6hipcub20BlockReduceAlgorithmE1EEhLj256ELj2ELj100EEvPKT0_PS4_ ; -- Begin function _Z6kernelI6reduceILN6hipcub20BlockReduceAlgorithmE1EEhLj256ELj2ELj100EEvPKT0_PS4_
	.globl	_Z6kernelI6reduceILN6hipcub20BlockReduceAlgorithmE1EEhLj256ELj2ELj100EEvPKT0_PS4_
	.p2align	8
	.type	_Z6kernelI6reduceILN6hipcub20BlockReduceAlgorithmE1EEhLj256ELj2ELj100EEvPKT0_PS4_,@function
_Z6kernelI6reduceILN6hipcub20BlockReduceAlgorithmE1EEhLj256ELj2ELj100EEvPKT0_PS4_: ; @_Z6kernelI6reduceILN6hipcub20BlockReduceAlgorithmE1EEhLj256ELj2ELj100EEvPKT0_PS4_
; %bb.0:
	s_clause 0x1
	s_load_b32 s4, s[0:1], 0x1c
	s_load_b128 s[0:3], s[0:1], 0x0
	v_mul_u32_u24_e32 v3, 7, v0
	s_delay_alu instid0(VALU_DEP_1) | instskip(SKIP_2) | instid1(SALU_CYCLE_1)
	v_add_nc_u32_e32 v3, v0, v3
	s_waitcnt lgkmcnt(0)
	s_and_b32 s4, s4, 0xffff
	s_mul_i32 s4, s15, s4
	s_delay_alu instid0(SALU_CYCLE_1)
	v_add_lshl_u32 v1, s4, v0, 1
	global_load_u16 v2, v1, s[0:1]
	v_mov_b32_e32 v1, 0x7c
	s_movk_i32 s0, 0x64
.LBB134_1:                              ; =>This Inner Loop Header: Depth=1
	s_waitcnt vmcnt(0)
	s_delay_alu instid0(VALU_DEP_1) | instskip(SKIP_1) | instid1(SALU_CYCLE_1)
	v_lshrrev_b16 v4, 8, v2
	s_add_i32 s0, s0, -1
	s_cmp_eq_u32 s0, 0
	s_delay_alu instid0(VALU_DEP_1)
	v_add_nc_u16 v4, v4, v2
	v_and_b32_e32 v2, 0xffffff00, v2
	ds_store_b8 v0, v4
	s_waitcnt lgkmcnt(0)
	s_barrier
	buffer_gl0_inv
	ds_load_b64 v[4:5], v3
	s_waitcnt lgkmcnt(0)
	v_lshrrev_b32_e32 v6, 8, v4
	v_lshrrev_b32_e32 v7, 16, v4
	s_delay_alu instid0(VALU_DEP_2) | instskip(SKIP_1) | instid1(VALU_DEP_2)
	v_add_nc_u16 v6, v6, v4
	v_lshrrev_b32_e32 v4, 24, v4
	v_add_nc_u16 v6, v6, v7
	v_lshrrev_b32_e32 v7, 16, v5
	s_delay_alu instid0(VALU_DEP_2) | instskip(SKIP_1) | instid1(VALU_DEP_2)
	v_add_nc_u16 v4, v6, v4
	v_lshrrev_b32_e32 v6, 8, v5
	v_add_nc_u16 v4, v4, v5
	v_lshrrev_b32_e32 v5, 24, v5
	s_delay_alu instid0(VALU_DEP_2) | instskip(NEXT) | instid1(VALU_DEP_1)
	v_add_nc_u16 v4, v4, v6
	v_add_nc_u16 v4, v4, v7
	s_delay_alu instid0(VALU_DEP_1) | instskip(NEXT) | instid1(VALU_DEP_1)
	v_add_nc_u16 v4, v4, v5
	v_and_b32_e32 v5, 0xff, v4
	s_delay_alu instid0(VALU_DEP_1) | instskip(NEXT) | instid1(VALU_DEP_1)
	v_mov_b32_dpp v5, v5 quad_perm:[1,0,3,2] row_mask:0xf bank_mask:0xf
	v_add_nc_u16 v4, v4, v5
	s_delay_alu instid0(VALU_DEP_1) | instskip(NEXT) | instid1(VALU_DEP_1)
	v_and_b32_e32 v5, 0xff, v4
	v_mov_b32_dpp v5, v5 quad_perm:[2,3,0,1] row_mask:0xf bank_mask:0xf
	s_delay_alu instid0(VALU_DEP_1) | instskip(NEXT) | instid1(VALU_DEP_1)
	v_add_nc_u16 v4, v4, v5
	v_and_b32_e32 v5, 0xff, v4
	s_delay_alu instid0(VALU_DEP_1) | instskip(NEXT) | instid1(VALU_DEP_1)
	v_mov_b32_dpp v5, v5 row_ror:4 row_mask:0xf bank_mask:0xf
	v_add_nc_u16 v4, v4, v5
	s_delay_alu instid0(VALU_DEP_1) | instskip(NEXT) | instid1(VALU_DEP_1)
	v_and_b32_e32 v5, 0xff, v4
	v_mov_b32_dpp v5, v5 row_ror:8 row_mask:0xf bank_mask:0xf
	s_delay_alu instid0(VALU_DEP_1) | instskip(NEXT) | instid1(VALU_DEP_1)
	v_add_nc_u16 v4, v4, v5
	v_and_b32_e32 v5, 0xff, v4
	ds_swizzle_b32 v5, v5 offset:swizzle(BROADCAST,32,15)
	s_waitcnt lgkmcnt(0)
	v_add_nc_u16 v4, v4, v5
	s_delay_alu instid0(VALU_DEP_1) | instskip(SKIP_3) | instid1(VALU_DEP_1)
	v_and_b32_e32 v4, 0xff, v4
	ds_bpermute_b32 v4, v1, v4
	s_waitcnt lgkmcnt(0)
	v_and_b32_e32 v5, 0xff, v4
	v_or_b32_e32 v2, v5, v2
	s_delay_alu instid0(VALU_DEP_1)
	v_and_b32_e32 v2, 0xffff, v2
	s_cbranch_scc0 .LBB134_1
; %bb.2:
	s_mov_b32 s0, exec_lo
	v_cmpx_eq_u32_e32 0, v0
	s_cbranch_execz .LBB134_4
; %bb.3:
	v_mov_b32_e32 v0, s15
	global_store_b8 v0, v4, s[2:3]
.LBB134_4:
	s_nop 0
	s_sendmsg sendmsg(MSG_DEALLOC_VGPRS)
	s_endpgm
	.section	.rodata,"a",@progbits
	.p2align	6, 0x0
	.amdhsa_kernel _Z6kernelI6reduceILN6hipcub20BlockReduceAlgorithmE1EEhLj256ELj2ELj100EEvPKT0_PS4_
		.amdhsa_group_segment_fixed_size 256
		.amdhsa_private_segment_fixed_size 0
		.amdhsa_kernarg_size 272
		.amdhsa_user_sgpr_count 15
		.amdhsa_user_sgpr_dispatch_ptr 0
		.amdhsa_user_sgpr_queue_ptr 0
		.amdhsa_user_sgpr_kernarg_segment_ptr 1
		.amdhsa_user_sgpr_dispatch_id 0
		.amdhsa_user_sgpr_private_segment_size 0
		.amdhsa_wavefront_size32 1
		.amdhsa_uses_dynamic_stack 0
		.amdhsa_enable_private_segment 0
		.amdhsa_system_sgpr_workgroup_id_x 1
		.amdhsa_system_sgpr_workgroup_id_y 0
		.amdhsa_system_sgpr_workgroup_id_z 0
		.amdhsa_system_sgpr_workgroup_info 0
		.amdhsa_system_vgpr_workitem_id 0
		.amdhsa_next_free_vgpr 8
		.amdhsa_next_free_sgpr 16
		.amdhsa_reserve_vcc 0
		.amdhsa_float_round_mode_32 0
		.amdhsa_float_round_mode_16_64 0
		.amdhsa_float_denorm_mode_32 3
		.amdhsa_float_denorm_mode_16_64 3
		.amdhsa_dx10_clamp 1
		.amdhsa_ieee_mode 1
		.amdhsa_fp16_overflow 0
		.amdhsa_workgroup_processor_mode 1
		.amdhsa_memory_ordered 1
		.amdhsa_forward_progress 0
		.amdhsa_shared_vgpr_count 0
		.amdhsa_exception_fp_ieee_invalid_op 0
		.amdhsa_exception_fp_denorm_src 0
		.amdhsa_exception_fp_ieee_div_zero 0
		.amdhsa_exception_fp_ieee_overflow 0
		.amdhsa_exception_fp_ieee_underflow 0
		.amdhsa_exception_fp_ieee_inexact 0
		.amdhsa_exception_int_div_zero 0
	.end_amdhsa_kernel
	.section	.text._Z6kernelI6reduceILN6hipcub20BlockReduceAlgorithmE1EEhLj256ELj2ELj100EEvPKT0_PS4_,"axG",@progbits,_Z6kernelI6reduceILN6hipcub20BlockReduceAlgorithmE1EEhLj256ELj2ELj100EEvPKT0_PS4_,comdat
.Lfunc_end134:
	.size	_Z6kernelI6reduceILN6hipcub20BlockReduceAlgorithmE1EEhLj256ELj2ELj100EEvPKT0_PS4_, .Lfunc_end134-_Z6kernelI6reduceILN6hipcub20BlockReduceAlgorithmE1EEhLj256ELj2ELj100EEvPKT0_PS4_
                                        ; -- End function
	.section	.AMDGPU.csdata,"",@progbits
; Kernel info:
; codeLenInByte = 492
; NumSgprs: 16
; NumVgprs: 8
; ScratchSize: 0
; MemoryBound: 0
; FloatMode: 240
; IeeeMode: 1
; LDSByteSize: 256 bytes/workgroup (compile time only)
; SGPRBlocks: 1
; VGPRBlocks: 0
; NumSGPRsForWavesPerEU: 16
; NumVGPRsForWavesPerEU: 8
; Occupancy: 16
; WaveLimiterHint : 0
; COMPUTE_PGM_RSRC2:SCRATCH_EN: 0
; COMPUTE_PGM_RSRC2:USER_SGPR: 15
; COMPUTE_PGM_RSRC2:TRAP_HANDLER: 0
; COMPUTE_PGM_RSRC2:TGID_X_EN: 1
; COMPUTE_PGM_RSRC2:TGID_Y_EN: 0
; COMPUTE_PGM_RSRC2:TGID_Z_EN: 0
; COMPUTE_PGM_RSRC2:TIDIG_COMP_CNT: 0
	.section	.text._Z6kernelI6reduceILN6hipcub20BlockReduceAlgorithmE1EEhLj256ELj3ELj100EEvPKT0_PS4_,"axG",@progbits,_Z6kernelI6reduceILN6hipcub20BlockReduceAlgorithmE1EEhLj256ELj3ELj100EEvPKT0_PS4_,comdat
	.protected	_Z6kernelI6reduceILN6hipcub20BlockReduceAlgorithmE1EEhLj256ELj3ELj100EEvPKT0_PS4_ ; -- Begin function _Z6kernelI6reduceILN6hipcub20BlockReduceAlgorithmE1EEhLj256ELj3ELj100EEvPKT0_PS4_
	.globl	_Z6kernelI6reduceILN6hipcub20BlockReduceAlgorithmE1EEhLj256ELj3ELj100EEvPKT0_PS4_
	.p2align	8
	.type	_Z6kernelI6reduceILN6hipcub20BlockReduceAlgorithmE1EEhLj256ELj3ELj100EEvPKT0_PS4_,@function
_Z6kernelI6reduceILN6hipcub20BlockReduceAlgorithmE1EEhLj256ELj3ELj100EEvPKT0_PS4_: ; @_Z6kernelI6reduceILN6hipcub20BlockReduceAlgorithmE1EEhLj256ELj3ELj100EEvPKT0_PS4_
; %bb.0:
	s_clause 0x1
	s_load_b32 s4, s[0:1], 0x1c
	s_load_b128 s[0:3], s[0:1], 0x0
	s_waitcnt lgkmcnt(0)
	s_and_b32 s4, s4, 0xffff
	s_delay_alu instid0(SALU_CYCLE_1) | instskip(NEXT) | instid1(VALU_DEP_1)
	v_mad_u64_u32 v[1:2], null, s15, s4, v[0:1]
	v_lshl_add_u32 v1, v1, 1, v1
	s_delay_alu instid0(VALU_DEP_1)
	v_add_nc_u32_e32 v2, 1, v1
	s_clause 0x1
	global_load_u8 v2, v2, s[0:1]
	global_load_u8 v3, v1, s[0:1]
	v_add_nc_u32_e32 v1, 2, v1
	global_load_u8 v4, v1, s[0:1]
	s_movk_i32 s0, 0x64
	s_waitcnt vmcnt(2)
	v_lshlrev_b16 v1, 8, v2
	s_waitcnt vmcnt(1)
	s_delay_alu instid0(VALU_DEP_1) | instskip(SKIP_1) | instid1(VALU_DEP_2)
	v_or_b32_e32 v1, v3, v1
	v_mul_u32_u24_e32 v3, 7, v0
	v_and_b32_e32 v2, 0xffff, v1
	v_mov_b32_e32 v1, 0x7c
	s_delay_alu instid0(VALU_DEP_3) | instskip(SKIP_1) | instid1(VALU_DEP_3)
	v_add_nc_u32_e32 v3, v0, v3
	s_waitcnt vmcnt(0)
	v_lshl_or_b32 v2, v4, 16, v2
.LBB135_1:                              ; =>This Inner Loop Header: Depth=1
	s_delay_alu instid0(VALU_DEP_1) | instskip(SKIP_2) | instid1(SALU_CYCLE_1)
	v_lshrrev_b32_e32 v6, 8, v2
	v_lshrrev_b32_e32 v4, 16, v2
	s_add_i32 s0, s0, -1
	s_cmp_eq_u32 s0, 0
	s_delay_alu instid0(VALU_DEP_2) | instskip(NEXT) | instid1(VALU_DEP_1)
	v_add_nc_u16 v5, v6, v2
	v_add_nc_u16 v4, v5, v4
	ds_store_b8 v0, v4
	s_waitcnt lgkmcnt(0)
	s_barrier
	buffer_gl0_inv
	ds_load_b64 v[4:5], v3
	s_waitcnt lgkmcnt(0)
	v_lshrrev_b32_e32 v7, 8, v4
	v_lshrrev_b32_e32 v8, 16, v4
	s_delay_alu instid0(VALU_DEP_2) | instskip(SKIP_1) | instid1(VALU_DEP_2)
	v_add_nc_u16 v7, v7, v4
	v_lshrrev_b32_e32 v4, 24, v4
	v_add_nc_u16 v7, v7, v8
	v_lshrrev_b32_e32 v8, 16, v5
	s_delay_alu instid0(VALU_DEP_2) | instskip(SKIP_1) | instid1(VALU_DEP_2)
	v_add_nc_u16 v4, v7, v4
	v_lshrrev_b32_e32 v7, 8, v5
	v_add_nc_u16 v4, v4, v5
	v_lshrrev_b32_e32 v5, 24, v5
	s_delay_alu instid0(VALU_DEP_2) | instskip(NEXT) | instid1(VALU_DEP_1)
	v_add_nc_u16 v4, v4, v7
	v_add_nc_u16 v4, v4, v8
	s_delay_alu instid0(VALU_DEP_1) | instskip(NEXT) | instid1(VALU_DEP_1)
	v_add_nc_u16 v4, v4, v5
	v_and_b32_e32 v5, 0xff, v4
	s_delay_alu instid0(VALU_DEP_1) | instskip(NEXT) | instid1(VALU_DEP_1)
	v_mov_b32_dpp v5, v5 quad_perm:[1,0,3,2] row_mask:0xf bank_mask:0xf
	v_add_nc_u16 v4, v4, v5
	s_delay_alu instid0(VALU_DEP_1) | instskip(NEXT) | instid1(VALU_DEP_1)
	v_and_b32_e32 v5, 0xff, v4
	v_mov_b32_dpp v5, v5 quad_perm:[2,3,0,1] row_mask:0xf bank_mask:0xf
	s_delay_alu instid0(VALU_DEP_1) | instskip(NEXT) | instid1(VALU_DEP_1)
	v_add_nc_u16 v4, v4, v5
	v_and_b32_e32 v5, 0xff, v4
	s_delay_alu instid0(VALU_DEP_1) | instskip(NEXT) | instid1(VALU_DEP_1)
	v_mov_b32_dpp v5, v5 row_ror:4 row_mask:0xf bank_mask:0xf
	v_add_nc_u16 v4, v4, v5
	s_delay_alu instid0(VALU_DEP_1) | instskip(NEXT) | instid1(VALU_DEP_1)
	v_and_b32_e32 v5, 0xff, v4
	v_mov_b32_dpp v5, v5 row_ror:8 row_mask:0xf bank_mask:0xf
	s_delay_alu instid0(VALU_DEP_1) | instskip(NEXT) | instid1(VALU_DEP_1)
	v_add_nc_u16 v4, v4, v5
	v_and_b32_e32 v5, 0xff, v4
	ds_swizzle_b32 v5, v5 offset:swizzle(BROADCAST,32,15)
	s_waitcnt lgkmcnt(0)
	v_add_nc_u16 v4, v4, v5
	v_lshlrev_b16 v5, 8, v6
	s_delay_alu instid0(VALU_DEP_2) | instskip(SKIP_3) | instid1(VALU_DEP_1)
	v_and_b32_e32 v4, 0xff, v4
	ds_bpermute_b32 v4, v1, v4
	s_waitcnt lgkmcnt(0)
	v_and_b32_e32 v6, 0xff, v4
	v_or_b32_e32 v5, v6, v5
	s_delay_alu instid0(VALU_DEP_1) | instskip(NEXT) | instid1(VALU_DEP_1)
	v_and_b32_e32 v5, 0xffff, v5
	v_and_or_b32 v2, 0xff0000, v2, v5
	s_cbranch_scc0 .LBB135_1
; %bb.2:
	s_mov_b32 s0, exec_lo
	v_cmpx_eq_u32_e32 0, v0
	s_cbranch_execz .LBB135_4
; %bb.3:
	v_mov_b32_e32 v0, s15
	global_store_b8 v0, v4, s[2:3]
.LBB135_4:
	s_nop 0
	s_sendmsg sendmsg(MSG_DEALLOC_VGPRS)
	s_endpgm
	.section	.rodata,"a",@progbits
	.p2align	6, 0x0
	.amdhsa_kernel _Z6kernelI6reduceILN6hipcub20BlockReduceAlgorithmE1EEhLj256ELj3ELj100EEvPKT0_PS4_
		.amdhsa_group_segment_fixed_size 256
		.amdhsa_private_segment_fixed_size 0
		.amdhsa_kernarg_size 272
		.amdhsa_user_sgpr_count 15
		.amdhsa_user_sgpr_dispatch_ptr 0
		.amdhsa_user_sgpr_queue_ptr 0
		.amdhsa_user_sgpr_kernarg_segment_ptr 1
		.amdhsa_user_sgpr_dispatch_id 0
		.amdhsa_user_sgpr_private_segment_size 0
		.amdhsa_wavefront_size32 1
		.amdhsa_uses_dynamic_stack 0
		.amdhsa_enable_private_segment 0
		.amdhsa_system_sgpr_workgroup_id_x 1
		.amdhsa_system_sgpr_workgroup_id_y 0
		.amdhsa_system_sgpr_workgroup_id_z 0
		.amdhsa_system_sgpr_workgroup_info 0
		.amdhsa_system_vgpr_workitem_id 0
		.amdhsa_next_free_vgpr 9
		.amdhsa_next_free_sgpr 16
		.amdhsa_reserve_vcc 0
		.amdhsa_float_round_mode_32 0
		.amdhsa_float_round_mode_16_64 0
		.amdhsa_float_denorm_mode_32 3
		.amdhsa_float_denorm_mode_16_64 3
		.amdhsa_dx10_clamp 1
		.amdhsa_ieee_mode 1
		.amdhsa_fp16_overflow 0
		.amdhsa_workgroup_processor_mode 1
		.amdhsa_memory_ordered 1
		.amdhsa_forward_progress 0
		.amdhsa_shared_vgpr_count 0
		.amdhsa_exception_fp_ieee_invalid_op 0
		.amdhsa_exception_fp_denorm_src 0
		.amdhsa_exception_fp_ieee_div_zero 0
		.amdhsa_exception_fp_ieee_overflow 0
		.amdhsa_exception_fp_ieee_underflow 0
		.amdhsa_exception_fp_ieee_inexact 0
		.amdhsa_exception_int_div_zero 0
	.end_amdhsa_kernel
	.section	.text._Z6kernelI6reduceILN6hipcub20BlockReduceAlgorithmE1EEhLj256ELj3ELj100EEvPKT0_PS4_,"axG",@progbits,_Z6kernelI6reduceILN6hipcub20BlockReduceAlgorithmE1EEhLj256ELj3ELj100EEvPKT0_PS4_,comdat
.Lfunc_end135:
	.size	_Z6kernelI6reduceILN6hipcub20BlockReduceAlgorithmE1EEhLj256ELj3ELj100EEvPKT0_PS4_, .Lfunc_end135-_Z6kernelI6reduceILN6hipcub20BlockReduceAlgorithmE1EEhLj256ELj3ELj100EEvPKT0_PS4_
                                        ; -- End function
	.section	.AMDGPU.csdata,"",@progbits
; Kernel info:
; codeLenInByte = 588
; NumSgprs: 16
; NumVgprs: 9
; ScratchSize: 0
; MemoryBound: 0
; FloatMode: 240
; IeeeMode: 1
; LDSByteSize: 256 bytes/workgroup (compile time only)
; SGPRBlocks: 1
; VGPRBlocks: 1
; NumSGPRsForWavesPerEU: 16
; NumVGPRsForWavesPerEU: 9
; Occupancy: 16
; WaveLimiterHint : 0
; COMPUTE_PGM_RSRC2:SCRATCH_EN: 0
; COMPUTE_PGM_RSRC2:USER_SGPR: 15
; COMPUTE_PGM_RSRC2:TRAP_HANDLER: 0
; COMPUTE_PGM_RSRC2:TGID_X_EN: 1
; COMPUTE_PGM_RSRC2:TGID_Y_EN: 0
; COMPUTE_PGM_RSRC2:TGID_Z_EN: 0
; COMPUTE_PGM_RSRC2:TIDIG_COMP_CNT: 0
	.section	.text._Z6kernelI6reduceILN6hipcub20BlockReduceAlgorithmE1EEhLj256ELj4ELj100EEvPKT0_PS4_,"axG",@progbits,_Z6kernelI6reduceILN6hipcub20BlockReduceAlgorithmE1EEhLj256ELj4ELj100EEvPKT0_PS4_,comdat
	.protected	_Z6kernelI6reduceILN6hipcub20BlockReduceAlgorithmE1EEhLj256ELj4ELj100EEvPKT0_PS4_ ; -- Begin function _Z6kernelI6reduceILN6hipcub20BlockReduceAlgorithmE1EEhLj256ELj4ELj100EEvPKT0_PS4_
	.globl	_Z6kernelI6reduceILN6hipcub20BlockReduceAlgorithmE1EEhLj256ELj4ELj100EEvPKT0_PS4_
	.p2align	8
	.type	_Z6kernelI6reduceILN6hipcub20BlockReduceAlgorithmE1EEhLj256ELj4ELj100EEvPKT0_PS4_,@function
_Z6kernelI6reduceILN6hipcub20BlockReduceAlgorithmE1EEhLj256ELj4ELj100EEvPKT0_PS4_: ; @_Z6kernelI6reduceILN6hipcub20BlockReduceAlgorithmE1EEhLj256ELj4ELj100EEvPKT0_PS4_
; %bb.0:
	s_clause 0x1
	s_load_b32 s4, s[0:1], 0x1c
	s_load_b128 s[0:3], s[0:1], 0x0
	v_mul_u32_u24_e32 v3, 7, v0
	s_delay_alu instid0(VALU_DEP_1) | instskip(SKIP_2) | instid1(SALU_CYCLE_1)
	v_dual_mov_b32 v2, 0x7c :: v_dual_add_nc_u32 v3, v0, v3
	s_waitcnt lgkmcnt(0)
	s_and_b32 s4, s4, 0xffff
	s_mul_i32 s4, s15, s4
	s_delay_alu instid0(SALU_CYCLE_1)
	v_add_lshl_u32 v1, s4, v0, 2
	global_load_b32 v1, v1, s[0:1]
	s_movk_i32 s0, 0x64
.LBB136_1:                              ; =>This Inner Loop Header: Depth=1
	s_waitcnt vmcnt(0)
	s_delay_alu instid0(VALU_DEP_1) | instskip(SKIP_3) | instid1(SALU_CYCLE_1)
	v_lshrrev_b32_e32 v4, 8, v1
	v_lshrrev_b32_e32 v5, 16, v1
	;; [unrolled: 1-line block ×3, first 2 shown]
	s_add_i32 s0, s0, -1
	s_cmp_eq_u32 s0, 0
	v_add_nc_u16 v4, v4, v1
	s_delay_alu instid0(VALU_DEP_1) | instskip(NEXT) | instid1(VALU_DEP_1)
	v_add_nc_u16 v4, v4, v5
	v_add_nc_u16 v4, v4, v6
	ds_store_b8 v0, v4
	s_waitcnt lgkmcnt(0)
	s_barrier
	buffer_gl0_inv
	ds_load_b64 v[4:5], v3
	s_waitcnt lgkmcnt(0)
	v_lshrrev_b32_e32 v6, 8, v4
	v_lshrrev_b32_e32 v7, 16, v4
	s_delay_alu instid0(VALU_DEP_2) | instskip(SKIP_1) | instid1(VALU_DEP_2)
	v_add_nc_u16 v6, v6, v4
	v_lshrrev_b32_e32 v4, 24, v4
	v_add_nc_u16 v6, v6, v7
	v_lshrrev_b32_e32 v7, 16, v5
	s_delay_alu instid0(VALU_DEP_2) | instskip(SKIP_1) | instid1(VALU_DEP_2)
	v_add_nc_u16 v4, v6, v4
	v_lshrrev_b32_e32 v6, 8, v5
	v_add_nc_u16 v4, v4, v5
	v_lshrrev_b32_e32 v5, 24, v5
	s_delay_alu instid0(VALU_DEP_2) | instskip(NEXT) | instid1(VALU_DEP_1)
	v_add_nc_u16 v4, v4, v6
	v_add_nc_u16 v4, v4, v7
	s_delay_alu instid0(VALU_DEP_1) | instskip(NEXT) | instid1(VALU_DEP_1)
	v_add_nc_u16 v4, v4, v5
	v_and_b32_e32 v5, 0xff, v4
	s_delay_alu instid0(VALU_DEP_1) | instskip(NEXT) | instid1(VALU_DEP_1)
	v_mov_b32_dpp v5, v5 quad_perm:[1,0,3,2] row_mask:0xf bank_mask:0xf
	v_add_nc_u16 v4, v4, v5
	s_delay_alu instid0(VALU_DEP_1) | instskip(NEXT) | instid1(VALU_DEP_1)
	v_and_b32_e32 v5, 0xff, v4
	v_mov_b32_dpp v5, v5 quad_perm:[2,3,0,1] row_mask:0xf bank_mask:0xf
	s_delay_alu instid0(VALU_DEP_1) | instskip(NEXT) | instid1(VALU_DEP_1)
	v_add_nc_u16 v4, v4, v5
	v_and_b32_e32 v5, 0xff, v4
	s_delay_alu instid0(VALU_DEP_1) | instskip(NEXT) | instid1(VALU_DEP_1)
	v_mov_b32_dpp v5, v5 row_ror:4 row_mask:0xf bank_mask:0xf
	v_add_nc_u16 v4, v4, v5
	s_delay_alu instid0(VALU_DEP_1) | instskip(NEXT) | instid1(VALU_DEP_1)
	v_and_b32_e32 v5, 0xff, v4
	v_mov_b32_dpp v5, v5 row_ror:8 row_mask:0xf bank_mask:0xf
	s_delay_alu instid0(VALU_DEP_1) | instskip(NEXT) | instid1(VALU_DEP_1)
	v_add_nc_u16 v4, v4, v5
	v_and_b32_e32 v5, 0xff, v4
	ds_swizzle_b32 v5, v5 offset:swizzle(BROADCAST,32,15)
	s_waitcnt lgkmcnt(0)
	v_add_nc_u16 v4, v4, v5
	s_delay_alu instid0(VALU_DEP_1)
	v_and_b32_e32 v4, 0xff, v4
	ds_bpermute_b32 v4, v2, v4
	s_waitcnt lgkmcnt(0)
	v_perm_b32 v1, v4, v1, 0x3020104
	s_cbranch_scc0 .LBB136_1
; %bb.2:
	s_mov_b32 s0, exec_lo
	v_cmpx_eq_u32_e32 0, v0
	s_cbranch_execz .LBB136_4
; %bb.3:
	v_mov_b32_e32 v0, s15
	global_store_b8 v0, v4, s[2:3]
.LBB136_4:
	s_nop 0
	s_sendmsg sendmsg(MSG_DEALLOC_VGPRS)
	s_endpgm
	.section	.rodata,"a",@progbits
	.p2align	6, 0x0
	.amdhsa_kernel _Z6kernelI6reduceILN6hipcub20BlockReduceAlgorithmE1EEhLj256ELj4ELj100EEvPKT0_PS4_
		.amdhsa_group_segment_fixed_size 256
		.amdhsa_private_segment_fixed_size 0
		.amdhsa_kernarg_size 272
		.amdhsa_user_sgpr_count 15
		.amdhsa_user_sgpr_dispatch_ptr 0
		.amdhsa_user_sgpr_queue_ptr 0
		.amdhsa_user_sgpr_kernarg_segment_ptr 1
		.amdhsa_user_sgpr_dispatch_id 0
		.amdhsa_user_sgpr_private_segment_size 0
		.amdhsa_wavefront_size32 1
		.amdhsa_uses_dynamic_stack 0
		.amdhsa_enable_private_segment 0
		.amdhsa_system_sgpr_workgroup_id_x 1
		.amdhsa_system_sgpr_workgroup_id_y 0
		.amdhsa_system_sgpr_workgroup_id_z 0
		.amdhsa_system_sgpr_workgroup_info 0
		.amdhsa_system_vgpr_workitem_id 0
		.amdhsa_next_free_vgpr 8
		.amdhsa_next_free_sgpr 16
		.amdhsa_reserve_vcc 0
		.amdhsa_float_round_mode_32 0
		.amdhsa_float_round_mode_16_64 0
		.amdhsa_float_denorm_mode_32 3
		.amdhsa_float_denorm_mode_16_64 3
		.amdhsa_dx10_clamp 1
		.amdhsa_ieee_mode 1
		.amdhsa_fp16_overflow 0
		.amdhsa_workgroup_processor_mode 1
		.amdhsa_memory_ordered 1
		.amdhsa_forward_progress 0
		.amdhsa_shared_vgpr_count 0
		.amdhsa_exception_fp_ieee_invalid_op 0
		.amdhsa_exception_fp_denorm_src 0
		.amdhsa_exception_fp_ieee_div_zero 0
		.amdhsa_exception_fp_ieee_overflow 0
		.amdhsa_exception_fp_ieee_underflow 0
		.amdhsa_exception_fp_ieee_inexact 0
		.amdhsa_exception_int_div_zero 0
	.end_amdhsa_kernel
	.section	.text._Z6kernelI6reduceILN6hipcub20BlockReduceAlgorithmE1EEhLj256ELj4ELj100EEvPKT0_PS4_,"axG",@progbits,_Z6kernelI6reduceILN6hipcub20BlockReduceAlgorithmE1EEhLj256ELj4ELj100EEvPKT0_PS4_,comdat
.Lfunc_end136:
	.size	_Z6kernelI6reduceILN6hipcub20BlockReduceAlgorithmE1EEhLj256ELj4ELj100EEvPKT0_PS4_, .Lfunc_end136-_Z6kernelI6reduceILN6hipcub20BlockReduceAlgorithmE1EEhLj256ELj4ELj100EEvPKT0_PS4_
                                        ; -- End function
	.section	.AMDGPU.csdata,"",@progbits
; Kernel info:
; codeLenInByte = 492
; NumSgprs: 16
; NumVgprs: 8
; ScratchSize: 0
; MemoryBound: 0
; FloatMode: 240
; IeeeMode: 1
; LDSByteSize: 256 bytes/workgroup (compile time only)
; SGPRBlocks: 1
; VGPRBlocks: 0
; NumSGPRsForWavesPerEU: 16
; NumVGPRsForWavesPerEU: 8
; Occupancy: 16
; WaveLimiterHint : 0
; COMPUTE_PGM_RSRC2:SCRATCH_EN: 0
; COMPUTE_PGM_RSRC2:USER_SGPR: 15
; COMPUTE_PGM_RSRC2:TRAP_HANDLER: 0
; COMPUTE_PGM_RSRC2:TGID_X_EN: 1
; COMPUTE_PGM_RSRC2:TGID_Y_EN: 0
; COMPUTE_PGM_RSRC2:TGID_Z_EN: 0
; COMPUTE_PGM_RSRC2:TIDIG_COMP_CNT: 0
	.section	.text._Z6kernelI6reduceILN6hipcub20BlockReduceAlgorithmE1EEhLj256ELj8ELj100EEvPKT0_PS4_,"axG",@progbits,_Z6kernelI6reduceILN6hipcub20BlockReduceAlgorithmE1EEhLj256ELj8ELj100EEvPKT0_PS4_,comdat
	.protected	_Z6kernelI6reduceILN6hipcub20BlockReduceAlgorithmE1EEhLj256ELj8ELj100EEvPKT0_PS4_ ; -- Begin function _Z6kernelI6reduceILN6hipcub20BlockReduceAlgorithmE1EEhLj256ELj8ELj100EEvPKT0_PS4_
	.globl	_Z6kernelI6reduceILN6hipcub20BlockReduceAlgorithmE1EEhLj256ELj8ELj100EEvPKT0_PS4_
	.p2align	8
	.type	_Z6kernelI6reduceILN6hipcub20BlockReduceAlgorithmE1EEhLj256ELj8ELj100EEvPKT0_PS4_,@function
_Z6kernelI6reduceILN6hipcub20BlockReduceAlgorithmE1EEhLj256ELj8ELj100EEvPKT0_PS4_: ; @_Z6kernelI6reduceILN6hipcub20BlockReduceAlgorithmE1EEhLj256ELj8ELj100EEvPKT0_PS4_
; %bb.0:
	s_clause 0x1
	s_load_b32 s4, s[0:1], 0x1c
	s_load_b128 s[0:3], s[0:1], 0x0
	v_mul_u32_u24_e32 v4, 7, v0
	s_delay_alu instid0(VALU_DEP_1) | instskip(SKIP_2) | instid1(SALU_CYCLE_1)
	v_dual_mov_b32 v3, 0x7c :: v_dual_add_nc_u32 v4, v0, v4
	s_waitcnt lgkmcnt(0)
	s_and_b32 s4, s4, 0xffff
	s_mul_i32 s4, s15, s4
	s_delay_alu instid0(SALU_CYCLE_1)
	v_add_lshl_u32 v1, s4, v0, 3
	global_load_b64 v[1:2], v1, s[0:1]
	s_movk_i32 s0, 0x64
.LBB137_1:                              ; =>This Inner Loop Header: Depth=1
	s_waitcnt vmcnt(0)
	s_delay_alu instid0(VALU_DEP_1)
	v_lshrrev_b32_e32 v6, 8, v1
	v_lshrrev_b32_e32 v8, 16, v1
	;; [unrolled: 1-line block ×5, first 2 shown]
	v_add_nc_u16 v6, v6, v1
	v_lshrrev_b32_e32 v10, 24, v2
	s_add_i32 s0, s0, -1
	s_delay_alu instid0(SALU_CYCLE_1) | instskip(NEXT) | instid1(VALU_DEP_2)
	s_cmp_eq_u32 s0, 0
	v_add_nc_u16 v6, v6, v8
	s_delay_alu instid0(VALU_DEP_1) | instskip(NEXT) | instid1(VALU_DEP_1)
	v_add_nc_u16 v6, v6, v9
	v_add_nc_u16 v6, v6, v2
	v_perm_b32 v2, v2, v2, 0x3060504
	s_delay_alu instid0(VALU_DEP_2) | instskip(NEXT) | instid1(VALU_DEP_1)
	v_add_nc_u16 v6, v6, v7
	v_add_nc_u16 v5, v6, v5
	s_delay_alu instid0(VALU_DEP_1)
	v_add_nc_u16 v5, v5, v10
	ds_store_b8 v0, v5
	s_waitcnt lgkmcnt(0)
	s_barrier
	buffer_gl0_inv
	ds_load_b64 v[5:6], v4
	s_waitcnt lgkmcnt(0)
	v_lshrrev_b32_e32 v7, 8, v5
	v_lshrrev_b32_e32 v8, 16, v5
	s_delay_alu instid0(VALU_DEP_2) | instskip(SKIP_1) | instid1(VALU_DEP_2)
	v_add_nc_u16 v7, v7, v5
	v_lshrrev_b32_e32 v5, 24, v5
	v_add_nc_u16 v7, v7, v8
	v_lshrrev_b32_e32 v8, 16, v6
	s_delay_alu instid0(VALU_DEP_2) | instskip(SKIP_1) | instid1(VALU_DEP_2)
	v_add_nc_u16 v5, v7, v5
	v_lshrrev_b32_e32 v7, 8, v6
	v_add_nc_u16 v5, v5, v6
	v_lshrrev_b32_e32 v6, 24, v6
	s_delay_alu instid0(VALU_DEP_2) | instskip(NEXT) | instid1(VALU_DEP_1)
	v_add_nc_u16 v5, v5, v7
	v_add_nc_u16 v5, v5, v8
	s_delay_alu instid0(VALU_DEP_1) | instskip(NEXT) | instid1(VALU_DEP_1)
	v_add_nc_u16 v5, v5, v6
	v_and_b32_e32 v6, 0xff, v5
	s_delay_alu instid0(VALU_DEP_1) | instskip(NEXT) | instid1(VALU_DEP_1)
	v_mov_b32_dpp v6, v6 quad_perm:[1,0,3,2] row_mask:0xf bank_mask:0xf
	v_add_nc_u16 v5, v5, v6
	s_delay_alu instid0(VALU_DEP_1) | instskip(NEXT) | instid1(VALU_DEP_1)
	v_and_b32_e32 v6, 0xff, v5
	v_mov_b32_dpp v6, v6 quad_perm:[2,3,0,1] row_mask:0xf bank_mask:0xf
	s_delay_alu instid0(VALU_DEP_1) | instskip(NEXT) | instid1(VALU_DEP_1)
	v_add_nc_u16 v5, v5, v6
	v_and_b32_e32 v6, 0xff, v5
	s_delay_alu instid0(VALU_DEP_1) | instskip(NEXT) | instid1(VALU_DEP_1)
	v_mov_b32_dpp v6, v6 row_ror:4 row_mask:0xf bank_mask:0xf
	v_add_nc_u16 v5, v5, v6
	s_delay_alu instid0(VALU_DEP_1) | instskip(NEXT) | instid1(VALU_DEP_1)
	v_and_b32_e32 v6, 0xff, v5
	v_mov_b32_dpp v6, v6 row_ror:8 row_mask:0xf bank_mask:0xf
	s_delay_alu instid0(VALU_DEP_1) | instskip(NEXT) | instid1(VALU_DEP_1)
	v_add_nc_u16 v5, v5, v6
	v_and_b32_e32 v6, 0xff, v5
	ds_swizzle_b32 v6, v6 offset:swizzle(BROADCAST,32,15)
	s_waitcnt lgkmcnt(0)
	v_add_nc_u16 v5, v5, v6
	s_delay_alu instid0(VALU_DEP_1)
	v_and_b32_e32 v5, 0xff, v5
	ds_bpermute_b32 v5, v3, v5
	s_waitcnt lgkmcnt(0)
	v_perm_b32 v1, v5, v1, 0x3020104
	s_cbranch_scc0 .LBB137_1
; %bb.2:
	s_mov_b32 s0, exec_lo
	v_cmpx_eq_u32_e32 0, v0
	s_cbranch_execz .LBB137_4
; %bb.3:
	v_mov_b32_e32 v0, s15
	global_store_b8 v0, v5, s[2:3]
.LBB137_4:
	s_nop 0
	s_sendmsg sendmsg(MSG_DEALLOC_VGPRS)
	s_endpgm
	.section	.rodata,"a",@progbits
	.p2align	6, 0x0
	.amdhsa_kernel _Z6kernelI6reduceILN6hipcub20BlockReduceAlgorithmE1EEhLj256ELj8ELj100EEvPKT0_PS4_
		.amdhsa_group_segment_fixed_size 256
		.amdhsa_private_segment_fixed_size 0
		.amdhsa_kernarg_size 272
		.amdhsa_user_sgpr_count 15
		.amdhsa_user_sgpr_dispatch_ptr 0
		.amdhsa_user_sgpr_queue_ptr 0
		.amdhsa_user_sgpr_kernarg_segment_ptr 1
		.amdhsa_user_sgpr_dispatch_id 0
		.amdhsa_user_sgpr_private_segment_size 0
		.amdhsa_wavefront_size32 1
		.amdhsa_uses_dynamic_stack 0
		.amdhsa_enable_private_segment 0
		.amdhsa_system_sgpr_workgroup_id_x 1
		.amdhsa_system_sgpr_workgroup_id_y 0
		.amdhsa_system_sgpr_workgroup_id_z 0
		.amdhsa_system_sgpr_workgroup_info 0
		.amdhsa_system_vgpr_workitem_id 0
		.amdhsa_next_free_vgpr 11
		.amdhsa_next_free_sgpr 16
		.amdhsa_reserve_vcc 0
		.amdhsa_float_round_mode_32 0
		.amdhsa_float_round_mode_16_64 0
		.amdhsa_float_denorm_mode_32 3
		.amdhsa_float_denorm_mode_16_64 3
		.amdhsa_dx10_clamp 1
		.amdhsa_ieee_mode 1
		.amdhsa_fp16_overflow 0
		.amdhsa_workgroup_processor_mode 1
		.amdhsa_memory_ordered 1
		.amdhsa_forward_progress 0
		.amdhsa_shared_vgpr_count 0
		.amdhsa_exception_fp_ieee_invalid_op 0
		.amdhsa_exception_fp_denorm_src 0
		.amdhsa_exception_fp_ieee_div_zero 0
		.amdhsa_exception_fp_ieee_overflow 0
		.amdhsa_exception_fp_ieee_underflow 0
		.amdhsa_exception_fp_ieee_inexact 0
		.amdhsa_exception_int_div_zero 0
	.end_amdhsa_kernel
	.section	.text._Z6kernelI6reduceILN6hipcub20BlockReduceAlgorithmE1EEhLj256ELj8ELj100EEvPKT0_PS4_,"axG",@progbits,_Z6kernelI6reduceILN6hipcub20BlockReduceAlgorithmE1EEhLj256ELj8ELj100EEvPKT0_PS4_,comdat
.Lfunc_end137:
	.size	_Z6kernelI6reduceILN6hipcub20BlockReduceAlgorithmE1EEhLj256ELj8ELj100EEvPKT0_PS4_, .Lfunc_end137-_Z6kernelI6reduceILN6hipcub20BlockReduceAlgorithmE1EEhLj256ELj8ELj100EEvPKT0_PS4_
                                        ; -- End function
	.section	.AMDGPU.csdata,"",@progbits
; Kernel info:
; codeLenInByte = 560
; NumSgprs: 16
; NumVgprs: 11
; ScratchSize: 0
; MemoryBound: 0
; FloatMode: 240
; IeeeMode: 1
; LDSByteSize: 256 bytes/workgroup (compile time only)
; SGPRBlocks: 1
; VGPRBlocks: 1
; NumSGPRsForWavesPerEU: 16
; NumVGPRsForWavesPerEU: 11
; Occupancy: 16
; WaveLimiterHint : 0
; COMPUTE_PGM_RSRC2:SCRATCH_EN: 0
; COMPUTE_PGM_RSRC2:USER_SGPR: 15
; COMPUTE_PGM_RSRC2:TRAP_HANDLER: 0
; COMPUTE_PGM_RSRC2:TGID_X_EN: 1
; COMPUTE_PGM_RSRC2:TGID_Y_EN: 0
; COMPUTE_PGM_RSRC2:TGID_Z_EN: 0
; COMPUTE_PGM_RSRC2:TIDIG_COMP_CNT: 0
	.section	.text._Z6kernelI6reduceILN6hipcub20BlockReduceAlgorithmE1EEhLj256ELj11ELj100EEvPKT0_PS4_,"axG",@progbits,_Z6kernelI6reduceILN6hipcub20BlockReduceAlgorithmE1EEhLj256ELj11ELj100EEvPKT0_PS4_,comdat
	.protected	_Z6kernelI6reduceILN6hipcub20BlockReduceAlgorithmE1EEhLj256ELj11ELj100EEvPKT0_PS4_ ; -- Begin function _Z6kernelI6reduceILN6hipcub20BlockReduceAlgorithmE1EEhLj256ELj11ELj100EEvPKT0_PS4_
	.globl	_Z6kernelI6reduceILN6hipcub20BlockReduceAlgorithmE1EEhLj256ELj11ELj100EEvPKT0_PS4_
	.p2align	8
	.type	_Z6kernelI6reduceILN6hipcub20BlockReduceAlgorithmE1EEhLj256ELj11ELj100EEvPKT0_PS4_,@function
_Z6kernelI6reduceILN6hipcub20BlockReduceAlgorithmE1EEhLj256ELj11ELj100EEvPKT0_PS4_: ; @_Z6kernelI6reduceILN6hipcub20BlockReduceAlgorithmE1EEhLj256ELj11ELj100EEvPKT0_PS4_
; %bb.0:
	s_load_b32 s2, s[0:1], 0x1c
	s_waitcnt lgkmcnt(0)
	s_and_b32 s2, s2, 0xffff
	s_delay_alu instid0(SALU_CYCLE_1) | instskip(SKIP_1) | instid1(VALU_DEP_1)
	v_mad_u64_u32 v[1:2], null, s15, s2, v[0:1]
	s_load_b128 s[0:3], s[0:1], 0x0
	v_mul_lo_u32 v1, v1, 11
	s_delay_alu instid0(VALU_DEP_1)
	v_add_nc_u32_e32 v3, 5, v1
	v_add_nc_u32_e32 v4, 7, v1
	;; [unrolled: 1-line block ×5, first 2 shown]
	s_waitcnt lgkmcnt(0)
	s_clause 0x1
	global_load_u8 v8, v3, s[0:1]
	global_load_u8 v4, v4, s[0:1]
	v_add_nc_u32_e32 v7, 6, v1
	v_add_nc_u32_e32 v3, 2, v1
	s_clause 0x5
	global_load_u8 v9, v2, s[0:1]
	global_load_u8 v5, v5, s[0:1]
	;; [unrolled: 1-line block ×6, first 2 shown]
	v_add_nc_u32_e32 v2, 8, v1
	v_add_nc_u32_e32 v3, 9, v1
	;; [unrolled: 1-line block ×3, first 2 shown]
	s_clause 0x2
	global_load_u8 v1, v2, s[0:1]
	global_load_u8 v2, v3, s[0:1]
	;; [unrolled: 1-line block ×3, first 2 shown]
	s_movk_i32 s0, 0x64
	s_waitcnt vmcnt(8)
	v_lshlrev_b16 v9, 8, v9
	v_lshlrev_b16 v8, 8, v8
	;; [unrolled: 1-line block ×3, first 2 shown]
	s_waitcnt vmcnt(7)
	v_lshlrev_b16 v5, 8, v5
	s_waitcnt vmcnt(6)
	v_or_b32_e32 v6, v6, v8
	s_waitcnt vmcnt(5)
	v_or_b32_e32 v4, v7, v4
	;; [unrolled: 2-line block ×4, first 2 shown]
	v_mul_u32_u24_e32 v10, 7, v0
	v_and_b32_e32 v6, 0xffff, v6
	v_lshlrev_b32_e32 v4, 16, v4
	v_and_b32_e32 v7, 0xffff, v7
	v_dual_mov_b32 v5, 0x7c :: v_dual_lshlrev_b32 v8, 16, v5
	v_add_nc_u32_e32 v10, v0, v10
	s_delay_alu instid0(VALU_DEP_4) | instskip(NEXT) | instid1(VALU_DEP_3)
	v_or_b32_e32 v4, v6, v4
	v_or_b32_e32 v6, v7, v8
	s_delay_alu instid0(VALU_DEP_2)
	v_lshrrev_b32_e32 v7, 16, v4
	v_lshrrev_b32_e32 v8, 8, v4
	;; [unrolled: 1-line block ×3, first 2 shown]
.LBB138_1:                              ; =>This Inner Loop Header: Depth=1
	s_delay_alu instid0(VALU_DEP_1) | instskip(SKIP_3) | instid1(SALU_CYCLE_1)
	v_lshrrev_b32_e32 v11, 8, v6
	v_lshrrev_b32_e32 v12, 16, v6
	;; [unrolled: 1-line block ×3, first 2 shown]
	s_add_i32 s0, s0, -1
	s_cmp_eq_u32 s0, 0
	v_add_nc_u16 v11, v11, v6
	s_delay_alu instid0(VALU_DEP_1) | instskip(NEXT) | instid1(VALU_DEP_1)
	v_add_nc_u16 v11, v11, v12
	v_add_nc_u16 v11, v11, v13
	s_delay_alu instid0(VALU_DEP_1) | instskip(NEXT) | instid1(VALU_DEP_1)
	v_add_nc_u16 v11, v11, v4
	;; [unrolled: 3-line block ×3, first 2 shown]
	v_add_nc_u16 v11, v11, v9
	s_waitcnt vmcnt(2)
	s_delay_alu instid0(VALU_DEP_1) | instskip(SKIP_1) | instid1(VALU_DEP_1)
	v_add_nc_u16 v11, v11, v1
	s_waitcnt vmcnt(1)
	v_add_nc_u16 v11, v11, v2
	s_waitcnt vmcnt(0)
	s_delay_alu instid0(VALU_DEP_1)
	v_add_nc_u16 v11, v11, v3
	ds_store_b8 v0, v11
	s_waitcnt lgkmcnt(0)
	s_barrier
	buffer_gl0_inv
	ds_load_b64 v[11:12], v10
	s_waitcnt lgkmcnt(0)
	v_lshrrev_b32_e32 v13, 8, v11
	v_lshrrev_b32_e32 v14, 16, v11
	s_delay_alu instid0(VALU_DEP_2) | instskip(SKIP_1) | instid1(VALU_DEP_2)
	v_add_nc_u16 v13, v13, v11
	v_lshrrev_b32_e32 v11, 24, v11
	v_add_nc_u16 v13, v13, v14
	v_lshrrev_b32_e32 v14, 16, v12
	s_delay_alu instid0(VALU_DEP_2) | instskip(SKIP_1) | instid1(VALU_DEP_2)
	v_add_nc_u16 v11, v13, v11
	v_lshrrev_b32_e32 v13, 8, v12
	v_add_nc_u16 v11, v11, v12
	v_lshrrev_b32_e32 v12, 24, v12
	s_delay_alu instid0(VALU_DEP_2) | instskip(NEXT) | instid1(VALU_DEP_1)
	v_add_nc_u16 v11, v11, v13
	v_add_nc_u16 v11, v11, v14
	s_delay_alu instid0(VALU_DEP_1) | instskip(NEXT) | instid1(VALU_DEP_1)
	v_add_nc_u16 v11, v11, v12
	v_and_b32_e32 v12, 0xff, v11
	s_delay_alu instid0(VALU_DEP_1) | instskip(NEXT) | instid1(VALU_DEP_1)
	v_mov_b32_dpp v12, v12 quad_perm:[1,0,3,2] row_mask:0xf bank_mask:0xf
	v_add_nc_u16 v11, v11, v12
	s_delay_alu instid0(VALU_DEP_1) | instskip(NEXT) | instid1(VALU_DEP_1)
	v_and_b32_e32 v12, 0xff, v11
	v_mov_b32_dpp v12, v12 quad_perm:[2,3,0,1] row_mask:0xf bank_mask:0xf
	s_delay_alu instid0(VALU_DEP_1) | instskip(NEXT) | instid1(VALU_DEP_1)
	v_add_nc_u16 v11, v11, v12
	v_and_b32_e32 v12, 0xff, v11
	s_delay_alu instid0(VALU_DEP_1) | instskip(NEXT) | instid1(VALU_DEP_1)
	v_mov_b32_dpp v12, v12 row_ror:4 row_mask:0xf bank_mask:0xf
	v_add_nc_u16 v11, v11, v12
	s_delay_alu instid0(VALU_DEP_1) | instskip(NEXT) | instid1(VALU_DEP_1)
	v_and_b32_e32 v12, 0xff, v11
	v_mov_b32_dpp v12, v12 row_ror:8 row_mask:0xf bank_mask:0xf
	s_delay_alu instid0(VALU_DEP_1) | instskip(NEXT) | instid1(VALU_DEP_1)
	v_add_nc_u16 v11, v11, v12
	v_and_b32_e32 v12, 0xff, v11
	ds_swizzle_b32 v12, v12 offset:swizzle(BROADCAST,32,15)
	s_waitcnt lgkmcnt(0)
	v_add_nc_u16 v11, v11, v12
	s_delay_alu instid0(VALU_DEP_1)
	v_and_b32_e32 v11, 0xff, v11
	ds_bpermute_b32 v11, v5, v11
	s_waitcnt lgkmcnt(0)
	v_perm_b32 v6, v11, v6, 0x3020104
	s_cbranch_scc0 .LBB138_1
; %bb.2:
	s_mov_b32 s0, exec_lo
	v_cmpx_eq_u32_e32 0, v0
	s_cbranch_execz .LBB138_4
; %bb.3:
	v_mov_b32_e32 v0, s15
	global_store_b8 v0, v11, s[2:3]
.LBB138_4:
	s_nop 0
	s_sendmsg sendmsg(MSG_DEALLOC_VGPRS)
	s_endpgm
	.section	.rodata,"a",@progbits
	.p2align	6, 0x0
	.amdhsa_kernel _Z6kernelI6reduceILN6hipcub20BlockReduceAlgorithmE1EEhLj256ELj11ELj100EEvPKT0_PS4_
		.amdhsa_group_segment_fixed_size 256
		.amdhsa_private_segment_fixed_size 0
		.amdhsa_kernarg_size 272
		.amdhsa_user_sgpr_count 15
		.amdhsa_user_sgpr_dispatch_ptr 0
		.amdhsa_user_sgpr_queue_ptr 0
		.amdhsa_user_sgpr_kernarg_segment_ptr 1
		.amdhsa_user_sgpr_dispatch_id 0
		.amdhsa_user_sgpr_private_segment_size 0
		.amdhsa_wavefront_size32 1
		.amdhsa_uses_dynamic_stack 0
		.amdhsa_enable_private_segment 0
		.amdhsa_system_sgpr_workgroup_id_x 1
		.amdhsa_system_sgpr_workgroup_id_y 0
		.amdhsa_system_sgpr_workgroup_id_z 0
		.amdhsa_system_sgpr_workgroup_info 0
		.amdhsa_system_vgpr_workitem_id 0
		.amdhsa_next_free_vgpr 15
		.amdhsa_next_free_sgpr 16
		.amdhsa_reserve_vcc 0
		.amdhsa_float_round_mode_32 0
		.amdhsa_float_round_mode_16_64 0
		.amdhsa_float_denorm_mode_32 3
		.amdhsa_float_denorm_mode_16_64 3
		.amdhsa_dx10_clamp 1
		.amdhsa_ieee_mode 1
		.amdhsa_fp16_overflow 0
		.amdhsa_workgroup_processor_mode 1
		.amdhsa_memory_ordered 1
		.amdhsa_forward_progress 0
		.amdhsa_shared_vgpr_count 0
		.amdhsa_exception_fp_ieee_invalid_op 0
		.amdhsa_exception_fp_denorm_src 0
		.amdhsa_exception_fp_ieee_div_zero 0
		.amdhsa_exception_fp_ieee_overflow 0
		.amdhsa_exception_fp_ieee_underflow 0
		.amdhsa_exception_fp_ieee_inexact 0
		.amdhsa_exception_int_div_zero 0
	.end_amdhsa_kernel
	.section	.text._Z6kernelI6reduceILN6hipcub20BlockReduceAlgorithmE1EEhLj256ELj11ELj100EEvPKT0_PS4_,"axG",@progbits,_Z6kernelI6reduceILN6hipcub20BlockReduceAlgorithmE1EEhLj256ELj11ELj100EEvPKT0_PS4_,comdat
.Lfunc_end138:
	.size	_Z6kernelI6reduceILN6hipcub20BlockReduceAlgorithmE1EEhLj256ELj11ELj100EEvPKT0_PS4_, .Lfunc_end138-_Z6kernelI6reduceILN6hipcub20BlockReduceAlgorithmE1EEhLj256ELj11ELj100EEvPKT0_PS4_
                                        ; -- End function
	.section	.AMDGPU.csdata,"",@progbits
; Kernel info:
; codeLenInByte = 832
; NumSgprs: 16
; NumVgprs: 15
; ScratchSize: 0
; MemoryBound: 0
; FloatMode: 240
; IeeeMode: 1
; LDSByteSize: 256 bytes/workgroup (compile time only)
; SGPRBlocks: 1
; VGPRBlocks: 1
; NumSGPRsForWavesPerEU: 16
; NumVGPRsForWavesPerEU: 15
; Occupancy: 16
; WaveLimiterHint : 0
; COMPUTE_PGM_RSRC2:SCRATCH_EN: 0
; COMPUTE_PGM_RSRC2:USER_SGPR: 15
; COMPUTE_PGM_RSRC2:TRAP_HANDLER: 0
; COMPUTE_PGM_RSRC2:TGID_X_EN: 1
; COMPUTE_PGM_RSRC2:TGID_Y_EN: 0
; COMPUTE_PGM_RSRC2:TGID_Z_EN: 0
; COMPUTE_PGM_RSRC2:TIDIG_COMP_CNT: 0
	.section	.text._Z6kernelI6reduceILN6hipcub20BlockReduceAlgorithmE1EEhLj256ELj16ELj100EEvPKT0_PS4_,"axG",@progbits,_Z6kernelI6reduceILN6hipcub20BlockReduceAlgorithmE1EEhLj256ELj16ELj100EEvPKT0_PS4_,comdat
	.protected	_Z6kernelI6reduceILN6hipcub20BlockReduceAlgorithmE1EEhLj256ELj16ELj100EEvPKT0_PS4_ ; -- Begin function _Z6kernelI6reduceILN6hipcub20BlockReduceAlgorithmE1EEhLj256ELj16ELj100EEvPKT0_PS4_
	.globl	_Z6kernelI6reduceILN6hipcub20BlockReduceAlgorithmE1EEhLj256ELj16ELj100EEvPKT0_PS4_
	.p2align	8
	.type	_Z6kernelI6reduceILN6hipcub20BlockReduceAlgorithmE1EEhLj256ELj16ELj100EEvPKT0_PS4_,@function
_Z6kernelI6reduceILN6hipcub20BlockReduceAlgorithmE1EEhLj256ELj16ELj100EEvPKT0_PS4_: ; @_Z6kernelI6reduceILN6hipcub20BlockReduceAlgorithmE1EEhLj256ELj16ELj100EEvPKT0_PS4_
; %bb.0:
	s_clause 0x1
	s_load_b32 s4, s[0:1], 0x1c
	s_load_b128 s[0:3], s[0:1], 0x0
	v_mul_u32_u24_e32 v9, 7, v0
	v_mov_b32_e32 v5, 0x7c
	s_delay_alu instid0(VALU_DEP_2) | instskip(SKIP_2) | instid1(SALU_CYCLE_1)
	v_add_nc_u32_e32 v9, v0, v9
	s_waitcnt lgkmcnt(0)
	s_and_b32 s4, s4, 0xffff
	s_mul_i32 s4, s15, s4
	s_delay_alu instid0(SALU_CYCLE_1)
	v_add_lshl_u32 v1, s4, v0, 4
	global_load_b128 v[1:4], v1, s[0:1]
	s_movk_i32 s0, 0x64
	s_waitcnt vmcnt(0)
	v_lshrrev_b32_e32 v6, 8, v3
	v_lshrrev_b32_e32 v7, 16, v3
	;; [unrolled: 1-line block ×3, first 2 shown]
.LBB139_1:                              ; =>This Inner Loop Header: Depth=1
	s_delay_alu instid0(VALU_DEP_1)
	v_lshrrev_b32_e32 v14, 8, v1
	v_lshrrev_b32_e32 v15, 16, v1
	;; [unrolled: 1-line block ×5, first 2 shown]
	v_add_nc_u16 v14, v14, v1
	v_lshrrev_b32_e32 v17, 24, v2
	v_lshrrev_b32_e32 v13, 8, v4
	;; [unrolled: 1-line block ×4, first 2 shown]
	v_add_nc_u16 v14, v14, v15
	s_add_i32 s0, s0, -1
	s_delay_alu instid0(SALU_CYCLE_1) | instskip(NEXT) | instid1(VALU_DEP_1)
	s_cmp_eq_u32 s0, 0
	v_add_nc_u16 v14, v14, v16
	s_delay_alu instid0(VALU_DEP_1) | instskip(SKIP_1) | instid1(VALU_DEP_2)
	v_add_nc_u16 v14, v14, v2
	v_perm_b32 v2, v2, v2, 0x3060504
	v_add_nc_u16 v11, v14, v11
	s_delay_alu instid0(VALU_DEP_1) | instskip(NEXT) | instid1(VALU_DEP_1)
	v_add_nc_u16 v10, v11, v10
	v_add_nc_u16 v10, v10, v17
	s_delay_alu instid0(VALU_DEP_1) | instskip(NEXT) | instid1(VALU_DEP_1)
	v_add_nc_u16 v10, v10, v3
	;; [unrolled: 3-line block ×3, first 2 shown]
	v_add_nc_u16 v10, v10, v8
	s_delay_alu instid0(VALU_DEP_1) | instskip(SKIP_1) | instid1(VALU_DEP_2)
	v_add_nc_u16 v10, v10, v4
	v_perm_b32 v4, v4, v4, 0x3060504
	v_add_nc_u16 v10, v10, v13
	s_delay_alu instid0(VALU_DEP_1) | instskip(NEXT) | instid1(VALU_DEP_1)
	v_add_nc_u16 v10, v10, v12
	v_add_nc_u16 v10, v10, v18
	ds_store_b8 v0, v10
	s_waitcnt lgkmcnt(0)
	s_barrier
	buffer_gl0_inv
	ds_load_b64 v[10:11], v9
	s_waitcnt lgkmcnt(0)
	v_lshrrev_b32_e32 v12, 8, v10
	v_lshrrev_b32_e32 v13, 16, v10
	s_delay_alu instid0(VALU_DEP_2) | instskip(SKIP_1) | instid1(VALU_DEP_2)
	v_add_nc_u16 v12, v12, v10
	v_lshrrev_b32_e32 v10, 24, v10
	v_add_nc_u16 v12, v12, v13
	v_lshrrev_b32_e32 v13, 16, v11
	s_delay_alu instid0(VALU_DEP_2) | instskip(SKIP_1) | instid1(VALU_DEP_2)
	v_add_nc_u16 v10, v12, v10
	v_lshrrev_b32_e32 v12, 8, v11
	v_add_nc_u16 v10, v10, v11
	v_lshrrev_b32_e32 v11, 24, v11
	s_delay_alu instid0(VALU_DEP_2) | instskip(NEXT) | instid1(VALU_DEP_1)
	v_add_nc_u16 v10, v10, v12
	v_add_nc_u16 v10, v10, v13
	s_delay_alu instid0(VALU_DEP_1) | instskip(NEXT) | instid1(VALU_DEP_1)
	v_add_nc_u16 v10, v10, v11
	v_and_b32_e32 v11, 0xff, v10
	s_delay_alu instid0(VALU_DEP_1) | instskip(NEXT) | instid1(VALU_DEP_1)
	v_mov_b32_dpp v11, v11 quad_perm:[1,0,3,2] row_mask:0xf bank_mask:0xf
	v_add_nc_u16 v10, v10, v11
	s_delay_alu instid0(VALU_DEP_1) | instskip(NEXT) | instid1(VALU_DEP_1)
	v_and_b32_e32 v11, 0xff, v10
	v_mov_b32_dpp v11, v11 quad_perm:[2,3,0,1] row_mask:0xf bank_mask:0xf
	s_delay_alu instid0(VALU_DEP_1) | instskip(NEXT) | instid1(VALU_DEP_1)
	v_add_nc_u16 v10, v10, v11
	v_and_b32_e32 v11, 0xff, v10
	s_delay_alu instid0(VALU_DEP_1) | instskip(NEXT) | instid1(VALU_DEP_1)
	v_mov_b32_dpp v11, v11 row_ror:4 row_mask:0xf bank_mask:0xf
	v_add_nc_u16 v10, v10, v11
	s_delay_alu instid0(VALU_DEP_1) | instskip(NEXT) | instid1(VALU_DEP_1)
	v_and_b32_e32 v11, 0xff, v10
	v_mov_b32_dpp v11, v11 row_ror:8 row_mask:0xf bank_mask:0xf
	s_delay_alu instid0(VALU_DEP_1) | instskip(NEXT) | instid1(VALU_DEP_1)
	v_add_nc_u16 v10, v10, v11
	v_and_b32_e32 v11, 0xff, v10
	ds_swizzle_b32 v11, v11 offset:swizzle(BROADCAST,32,15)
	s_waitcnt lgkmcnt(0)
	v_add_nc_u16 v10, v10, v11
	s_delay_alu instid0(VALU_DEP_1)
	v_and_b32_e32 v10, 0xff, v10
	ds_bpermute_b32 v10, v5, v10
	s_waitcnt lgkmcnt(0)
	v_perm_b32 v1, v10, v1, 0x3020104
	s_cbranch_scc0 .LBB139_1
; %bb.2:
	s_mov_b32 s0, exec_lo
	v_cmpx_eq_u32_e32 0, v0
	s_cbranch_execz .LBB139_4
; %bb.3:
	v_mov_b32_e32 v0, s15
	global_store_b8 v0, v10, s[2:3]
.LBB139_4:
	s_nop 0
	s_sendmsg sendmsg(MSG_DEALLOC_VGPRS)
	s_endpgm
	.section	.rodata,"a",@progbits
	.p2align	6, 0x0
	.amdhsa_kernel _Z6kernelI6reduceILN6hipcub20BlockReduceAlgorithmE1EEhLj256ELj16ELj100EEvPKT0_PS4_
		.amdhsa_group_segment_fixed_size 256
		.amdhsa_private_segment_fixed_size 0
		.amdhsa_kernarg_size 272
		.amdhsa_user_sgpr_count 15
		.amdhsa_user_sgpr_dispatch_ptr 0
		.amdhsa_user_sgpr_queue_ptr 0
		.amdhsa_user_sgpr_kernarg_segment_ptr 1
		.amdhsa_user_sgpr_dispatch_id 0
		.amdhsa_user_sgpr_private_segment_size 0
		.amdhsa_wavefront_size32 1
		.amdhsa_uses_dynamic_stack 0
		.amdhsa_enable_private_segment 0
		.amdhsa_system_sgpr_workgroup_id_x 1
		.amdhsa_system_sgpr_workgroup_id_y 0
		.amdhsa_system_sgpr_workgroup_id_z 0
		.amdhsa_system_sgpr_workgroup_info 0
		.amdhsa_system_vgpr_workitem_id 0
		.amdhsa_next_free_vgpr 19
		.amdhsa_next_free_sgpr 16
		.amdhsa_reserve_vcc 0
		.amdhsa_float_round_mode_32 0
		.amdhsa_float_round_mode_16_64 0
		.amdhsa_float_denorm_mode_32 3
		.amdhsa_float_denorm_mode_16_64 3
		.amdhsa_dx10_clamp 1
		.amdhsa_ieee_mode 1
		.amdhsa_fp16_overflow 0
		.amdhsa_workgroup_processor_mode 1
		.amdhsa_memory_ordered 1
		.amdhsa_forward_progress 0
		.amdhsa_shared_vgpr_count 0
		.amdhsa_exception_fp_ieee_invalid_op 0
		.amdhsa_exception_fp_denorm_src 0
		.amdhsa_exception_fp_ieee_div_zero 0
		.amdhsa_exception_fp_ieee_overflow 0
		.amdhsa_exception_fp_ieee_underflow 0
		.amdhsa_exception_fp_ieee_inexact 0
		.amdhsa_exception_int_div_zero 0
	.end_amdhsa_kernel
	.section	.text._Z6kernelI6reduceILN6hipcub20BlockReduceAlgorithmE1EEhLj256ELj16ELj100EEvPKT0_PS4_,"axG",@progbits,_Z6kernelI6reduceILN6hipcub20BlockReduceAlgorithmE1EEhLj256ELj16ELj100EEvPKT0_PS4_,comdat
.Lfunc_end139:
	.size	_Z6kernelI6reduceILN6hipcub20BlockReduceAlgorithmE1EEhLj256ELj16ELj100EEvPKT0_PS4_, .Lfunc_end139-_Z6kernelI6reduceILN6hipcub20BlockReduceAlgorithmE1EEhLj256ELj16ELj100EEvPKT0_PS4_
                                        ; -- End function
	.section	.AMDGPU.csdata,"",@progbits
; Kernel info:
; codeLenInByte = 672
; NumSgprs: 16
; NumVgprs: 19
; ScratchSize: 0
; MemoryBound: 0
; FloatMode: 240
; IeeeMode: 1
; LDSByteSize: 256 bytes/workgroup (compile time only)
; SGPRBlocks: 1
; VGPRBlocks: 2
; NumSGPRsForWavesPerEU: 16
; NumVGPRsForWavesPerEU: 19
; Occupancy: 16
; WaveLimiterHint : 0
; COMPUTE_PGM_RSRC2:SCRATCH_EN: 0
; COMPUTE_PGM_RSRC2:USER_SGPR: 15
; COMPUTE_PGM_RSRC2:TRAP_HANDLER: 0
; COMPUTE_PGM_RSRC2:TGID_X_EN: 1
; COMPUTE_PGM_RSRC2:TGID_Y_EN: 0
; COMPUTE_PGM_RSRC2:TGID_Z_EN: 0
; COMPUTE_PGM_RSRC2:TIDIG_COMP_CNT: 0
	.section	.text._Z6kernelI6reduceILN6hipcub20BlockReduceAlgorithmE2EEiLj64ELj1ELj100EEvPKT0_PS4_,"axG",@progbits,_Z6kernelI6reduceILN6hipcub20BlockReduceAlgorithmE2EEiLj64ELj1ELj100EEvPKT0_PS4_,comdat
	.protected	_Z6kernelI6reduceILN6hipcub20BlockReduceAlgorithmE2EEiLj64ELj1ELj100EEvPKT0_PS4_ ; -- Begin function _Z6kernelI6reduceILN6hipcub20BlockReduceAlgorithmE2EEiLj64ELj1ELj100EEvPKT0_PS4_
	.globl	_Z6kernelI6reduceILN6hipcub20BlockReduceAlgorithmE2EEiLj64ELj1ELj100EEvPKT0_PS4_
	.p2align	8
	.type	_Z6kernelI6reduceILN6hipcub20BlockReduceAlgorithmE2EEiLj64ELj1ELj100EEvPKT0_PS4_,@function
_Z6kernelI6reduceILN6hipcub20BlockReduceAlgorithmE2EEiLj64ELj1ELj100EEvPKT0_PS4_: ; @_Z6kernelI6reduceILN6hipcub20BlockReduceAlgorithmE2EEiLj64ELj1ELj100EEvPKT0_PS4_
; %bb.0:
	s_clause 0x1
	s_load_b32 s5, s[0:1], 0x1c
	s_load_b128 s[0:3], s[0:1], 0x0
	s_mov_b32 s4, s15
	v_mov_b32_e32 v3, 0x7c
	s_waitcnt lgkmcnt(0)
	s_and_b32 s5, s5, 0xffff
	s_delay_alu instid0(SALU_CYCLE_1) | instskip(SKIP_1) | instid1(VALU_DEP_1)
	v_mad_u64_u32 v[1:2], null, s4, s5, v[0:1]
	v_mov_b32_e32 v2, 0
	v_lshlrev_b64 v[1:2], 2, v[1:2]
	s_delay_alu instid0(VALU_DEP_1) | instskip(NEXT) | instid1(VALU_DEP_2)
	v_add_co_u32 v1, vcc_lo, s0, v1
	v_add_co_ci_u32_e32 v2, vcc_lo, s1, v2, vcc_lo
	s_movk_i32 s0, 0x64
	global_load_b32 v1, v[1:2], off
	v_lshlrev_b32_e32 v2, 2, v0
	.p2align	6
.LBB140_1:                              ; =>This Inner Loop Header: Depth=1
	s_waitcnt vmcnt(0) lgkmcnt(0)
	s_barrier
	buffer_gl0_inv
	ds_load_b32 v4, v2 offset:128
	s_add_i32 s0, s0, -1
	s_delay_alu instid0(SALU_CYCLE_1) | instskip(SKIP_2) | instid1(VALU_DEP_1)
	s_cmp_eq_u32 s0, 0
	s_waitcnt lgkmcnt(0)
	v_add_nc_u32_e32 v1, v4, v1
	v_mov_b32_dpp v4, v1 quad_perm:[1,0,3,2] row_mask:0xf bank_mask:0xf
	s_delay_alu instid0(VALU_DEP_1) | instskip(NEXT) | instid1(VALU_DEP_1)
	v_add_nc_u32_e32 v1, v4, v1
	v_mov_b32_dpp v4, v1 quad_perm:[2,3,0,1] row_mask:0xf bank_mask:0xf
	s_delay_alu instid0(VALU_DEP_1) | instskip(NEXT) | instid1(VALU_DEP_1)
	v_add_nc_u32_e32 v1, v1, v4
	v_mov_b32_dpp v4, v1 row_ror:4 row_mask:0xf bank_mask:0xf
	s_delay_alu instid0(VALU_DEP_1) | instskip(NEXT) | instid1(VALU_DEP_1)
	v_add_nc_u32_e32 v1, v1, v4
	v_mov_b32_dpp v4, v1 row_ror:8 row_mask:0xf bank_mask:0xf
	s_delay_alu instid0(VALU_DEP_1)
	v_add_nc_u32_e32 v1, v1, v4
	ds_swizzle_b32 v4, v1 offset:swizzle(BROADCAST,32,15)
	s_waitcnt lgkmcnt(0)
	v_add_nc_u32_e32 v1, v1, v4
	ds_bpermute_b32 v1, v3, v1
	s_cbranch_scc0 .LBB140_1
; %bb.2:
	s_mov_b32 s5, 0
	s_mov_b32 s0, exec_lo
	v_cmpx_eq_u32_e32 0, v0
	s_cbranch_execz .LBB140_4
; %bb.3:
	s_lshl_b64 s[0:1], s[4:5], 2
	v_mov_b32_e32 v0, 0
	s_add_u32 s0, s2, s0
	s_addc_u32 s1, s3, s1
	s_waitcnt lgkmcnt(0)
	global_store_b32 v0, v1, s[0:1]
.LBB140_4:
	s_nop 0
	s_sendmsg sendmsg(MSG_DEALLOC_VGPRS)
	s_endpgm
	.section	.rodata,"a",@progbits
	.p2align	6, 0x0
	.amdhsa_kernel _Z6kernelI6reduceILN6hipcub20BlockReduceAlgorithmE2EEiLj64ELj1ELj100EEvPKT0_PS4_
		.amdhsa_group_segment_fixed_size 256
		.amdhsa_private_segment_fixed_size 0
		.amdhsa_kernarg_size 272
		.amdhsa_user_sgpr_count 15
		.amdhsa_user_sgpr_dispatch_ptr 0
		.amdhsa_user_sgpr_queue_ptr 0
		.amdhsa_user_sgpr_kernarg_segment_ptr 1
		.amdhsa_user_sgpr_dispatch_id 0
		.amdhsa_user_sgpr_private_segment_size 0
		.amdhsa_wavefront_size32 1
		.amdhsa_uses_dynamic_stack 0
		.amdhsa_enable_private_segment 0
		.amdhsa_system_sgpr_workgroup_id_x 1
		.amdhsa_system_sgpr_workgroup_id_y 0
		.amdhsa_system_sgpr_workgroup_id_z 0
		.amdhsa_system_sgpr_workgroup_info 0
		.amdhsa_system_vgpr_workitem_id 0
		.amdhsa_next_free_vgpr 5
		.amdhsa_next_free_sgpr 16
		.amdhsa_reserve_vcc 1
		.amdhsa_float_round_mode_32 0
		.amdhsa_float_round_mode_16_64 0
		.amdhsa_float_denorm_mode_32 3
		.amdhsa_float_denorm_mode_16_64 3
		.amdhsa_dx10_clamp 1
		.amdhsa_ieee_mode 1
		.amdhsa_fp16_overflow 0
		.amdhsa_workgroup_processor_mode 1
		.amdhsa_memory_ordered 1
		.amdhsa_forward_progress 0
		.amdhsa_shared_vgpr_count 0
		.amdhsa_exception_fp_ieee_invalid_op 0
		.amdhsa_exception_fp_denorm_src 0
		.amdhsa_exception_fp_ieee_div_zero 0
		.amdhsa_exception_fp_ieee_overflow 0
		.amdhsa_exception_fp_ieee_underflow 0
		.amdhsa_exception_fp_ieee_inexact 0
		.amdhsa_exception_int_div_zero 0
	.end_amdhsa_kernel
	.section	.text._Z6kernelI6reduceILN6hipcub20BlockReduceAlgorithmE2EEiLj64ELj1ELj100EEvPKT0_PS4_,"axG",@progbits,_Z6kernelI6reduceILN6hipcub20BlockReduceAlgorithmE2EEiLj64ELj1ELj100EEvPKT0_PS4_,comdat
.Lfunc_end140:
	.size	_Z6kernelI6reduceILN6hipcub20BlockReduceAlgorithmE2EEiLj64ELj1ELj100EEvPKT0_PS4_, .Lfunc_end140-_Z6kernelI6reduceILN6hipcub20BlockReduceAlgorithmE2EEiLj64ELj1ELj100EEvPKT0_PS4_
                                        ; -- End function
	.section	.AMDGPU.csdata,"",@progbits
; Kernel info:
; codeLenInByte = 292
; NumSgprs: 18
; NumVgprs: 5
; ScratchSize: 0
; MemoryBound: 0
; FloatMode: 240
; IeeeMode: 1
; LDSByteSize: 256 bytes/workgroup (compile time only)
; SGPRBlocks: 2
; VGPRBlocks: 0
; NumSGPRsForWavesPerEU: 18
; NumVGPRsForWavesPerEU: 5
; Occupancy: 16
; WaveLimiterHint : 0
; COMPUTE_PGM_RSRC2:SCRATCH_EN: 0
; COMPUTE_PGM_RSRC2:USER_SGPR: 15
; COMPUTE_PGM_RSRC2:TRAP_HANDLER: 0
; COMPUTE_PGM_RSRC2:TGID_X_EN: 1
; COMPUTE_PGM_RSRC2:TGID_Y_EN: 0
; COMPUTE_PGM_RSRC2:TGID_Z_EN: 0
; COMPUTE_PGM_RSRC2:TIDIG_COMP_CNT: 0
	.section	.text._Z6kernelI6reduceILN6hipcub20BlockReduceAlgorithmE2EEiLj64ELj2ELj100EEvPKT0_PS4_,"axG",@progbits,_Z6kernelI6reduceILN6hipcub20BlockReduceAlgorithmE2EEiLj64ELj2ELj100EEvPKT0_PS4_,comdat
	.protected	_Z6kernelI6reduceILN6hipcub20BlockReduceAlgorithmE2EEiLj64ELj2ELj100EEvPKT0_PS4_ ; -- Begin function _Z6kernelI6reduceILN6hipcub20BlockReduceAlgorithmE2EEiLj64ELj2ELj100EEvPKT0_PS4_
	.globl	_Z6kernelI6reduceILN6hipcub20BlockReduceAlgorithmE2EEiLj64ELj2ELj100EEvPKT0_PS4_
	.p2align	8
	.type	_Z6kernelI6reduceILN6hipcub20BlockReduceAlgorithmE2EEiLj64ELj2ELj100EEvPKT0_PS4_,@function
_Z6kernelI6reduceILN6hipcub20BlockReduceAlgorithmE2EEiLj64ELj2ELj100EEvPKT0_PS4_: ; @_Z6kernelI6reduceILN6hipcub20BlockReduceAlgorithmE2EEiLj64ELj2ELj100EEvPKT0_PS4_
; %bb.0:
	s_clause 0x1
	s_load_b32 s5, s[0:1], 0x1c
	s_load_b128 s[0:3], s[0:1], 0x0
	v_dual_mov_b32 v2, 0 :: v_dual_lshlrev_b32 v3, 2, v0
	v_mov_b32_e32 v4, 0x7c
	s_mov_b32 s4, s15
	s_waitcnt lgkmcnt(0)
	s_and_b32 s5, s5, 0xffff
	s_delay_alu instid0(SALU_CYCLE_1) | instskip(NEXT) | instid1(SALU_CYCLE_1)
	s_mul_i32 s5, s15, s5
	v_add_lshl_u32 v1, s5, v0, 1
	s_delay_alu instid0(VALU_DEP_1) | instskip(NEXT) | instid1(VALU_DEP_1)
	v_lshlrev_b64 v[1:2], 2, v[1:2]
	v_add_co_u32 v1, vcc_lo, s0, v1
	s_delay_alu instid0(VALU_DEP_2)
	v_add_co_ci_u32_e32 v2, vcc_lo, s1, v2, vcc_lo
	s_movk_i32 s0, 0x64
	global_load_b64 v[1:2], v[1:2], off
	.p2align	6
.LBB141_1:                              ; =>This Inner Loop Header: Depth=1
	s_waitcnt vmcnt(0) lgkmcnt(0)
	s_barrier
	buffer_gl0_inv
	ds_load_b32 v5, v3 offset:128
	s_add_i32 s0, s0, -1
	s_delay_alu instid0(SALU_CYCLE_1) | instskip(SKIP_2) | instid1(VALU_DEP_1)
	s_cmp_eq_u32 s0, 0
	s_waitcnt lgkmcnt(0)
	v_add3_u32 v1, v2, v1, v5
	v_mov_b32_dpp v5, v1 quad_perm:[1,0,3,2] row_mask:0xf bank_mask:0xf
	s_delay_alu instid0(VALU_DEP_1) | instskip(NEXT) | instid1(VALU_DEP_1)
	v_add_nc_u32_e32 v1, v5, v1
	v_mov_b32_dpp v5, v1 quad_perm:[2,3,0,1] row_mask:0xf bank_mask:0xf
	s_delay_alu instid0(VALU_DEP_1) | instskip(NEXT) | instid1(VALU_DEP_1)
	v_add_nc_u32_e32 v1, v1, v5
	v_mov_b32_dpp v5, v1 row_ror:4 row_mask:0xf bank_mask:0xf
	s_delay_alu instid0(VALU_DEP_1) | instskip(NEXT) | instid1(VALU_DEP_1)
	v_add_nc_u32_e32 v1, v1, v5
	v_mov_b32_dpp v5, v1 row_ror:8 row_mask:0xf bank_mask:0xf
	s_delay_alu instid0(VALU_DEP_1)
	v_add_nc_u32_e32 v1, v1, v5
	ds_swizzle_b32 v5, v1 offset:swizzle(BROADCAST,32,15)
	s_waitcnt lgkmcnt(0)
	v_add_nc_u32_e32 v1, v1, v5
	ds_bpermute_b32 v1, v4, v1
	s_cbranch_scc0 .LBB141_1
; %bb.2:
	s_mov_b32 s5, 0
	s_mov_b32 s0, exec_lo
	v_cmpx_eq_u32_e32 0, v0
	s_cbranch_execz .LBB141_4
; %bb.3:
	s_lshl_b64 s[0:1], s[4:5], 2
	v_mov_b32_e32 v0, 0
	s_add_u32 s0, s2, s0
	s_addc_u32 s1, s3, s1
	s_waitcnt lgkmcnt(0)
	global_store_b32 v0, v1, s[0:1]
.LBB141_4:
	s_nop 0
	s_sendmsg sendmsg(MSG_DEALLOC_VGPRS)
	s_endpgm
	.section	.rodata,"a",@progbits
	.p2align	6, 0x0
	.amdhsa_kernel _Z6kernelI6reduceILN6hipcub20BlockReduceAlgorithmE2EEiLj64ELj2ELj100EEvPKT0_PS4_
		.amdhsa_group_segment_fixed_size 256
		.amdhsa_private_segment_fixed_size 0
		.amdhsa_kernarg_size 272
		.amdhsa_user_sgpr_count 15
		.amdhsa_user_sgpr_dispatch_ptr 0
		.amdhsa_user_sgpr_queue_ptr 0
		.amdhsa_user_sgpr_kernarg_segment_ptr 1
		.amdhsa_user_sgpr_dispatch_id 0
		.amdhsa_user_sgpr_private_segment_size 0
		.amdhsa_wavefront_size32 1
		.amdhsa_uses_dynamic_stack 0
		.amdhsa_enable_private_segment 0
		.amdhsa_system_sgpr_workgroup_id_x 1
		.amdhsa_system_sgpr_workgroup_id_y 0
		.amdhsa_system_sgpr_workgroup_id_z 0
		.amdhsa_system_sgpr_workgroup_info 0
		.amdhsa_system_vgpr_workitem_id 0
		.amdhsa_next_free_vgpr 6
		.amdhsa_next_free_sgpr 16
		.amdhsa_reserve_vcc 1
		.amdhsa_float_round_mode_32 0
		.amdhsa_float_round_mode_16_64 0
		.amdhsa_float_denorm_mode_32 3
		.amdhsa_float_denorm_mode_16_64 3
		.amdhsa_dx10_clamp 1
		.amdhsa_ieee_mode 1
		.amdhsa_fp16_overflow 0
		.amdhsa_workgroup_processor_mode 1
		.amdhsa_memory_ordered 1
		.amdhsa_forward_progress 0
		.amdhsa_shared_vgpr_count 0
		.amdhsa_exception_fp_ieee_invalid_op 0
		.amdhsa_exception_fp_denorm_src 0
		.amdhsa_exception_fp_ieee_div_zero 0
		.amdhsa_exception_fp_ieee_overflow 0
		.amdhsa_exception_fp_ieee_underflow 0
		.amdhsa_exception_fp_ieee_inexact 0
		.amdhsa_exception_int_div_zero 0
	.end_amdhsa_kernel
	.section	.text._Z6kernelI6reduceILN6hipcub20BlockReduceAlgorithmE2EEiLj64ELj2ELj100EEvPKT0_PS4_,"axG",@progbits,_Z6kernelI6reduceILN6hipcub20BlockReduceAlgorithmE2EEiLj64ELj2ELj100EEvPKT0_PS4_,comdat
.Lfunc_end141:
	.size	_Z6kernelI6reduceILN6hipcub20BlockReduceAlgorithmE2EEiLj64ELj2ELj100EEvPKT0_PS4_, .Lfunc_end141-_Z6kernelI6reduceILN6hipcub20BlockReduceAlgorithmE2EEiLj64ELj2ELj100EEvPKT0_PS4_
                                        ; -- End function
	.section	.AMDGPU.csdata,"",@progbits
; Kernel info:
; codeLenInByte = 304
; NumSgprs: 18
; NumVgprs: 6
; ScratchSize: 0
; MemoryBound: 0
; FloatMode: 240
; IeeeMode: 1
; LDSByteSize: 256 bytes/workgroup (compile time only)
; SGPRBlocks: 2
; VGPRBlocks: 0
; NumSGPRsForWavesPerEU: 18
; NumVGPRsForWavesPerEU: 6
; Occupancy: 16
; WaveLimiterHint : 0
; COMPUTE_PGM_RSRC2:SCRATCH_EN: 0
; COMPUTE_PGM_RSRC2:USER_SGPR: 15
; COMPUTE_PGM_RSRC2:TRAP_HANDLER: 0
; COMPUTE_PGM_RSRC2:TGID_X_EN: 1
; COMPUTE_PGM_RSRC2:TGID_Y_EN: 0
; COMPUTE_PGM_RSRC2:TGID_Z_EN: 0
; COMPUTE_PGM_RSRC2:TIDIG_COMP_CNT: 0
	.section	.text._Z6kernelI6reduceILN6hipcub20BlockReduceAlgorithmE2EEiLj64ELj3ELj100EEvPKT0_PS4_,"axG",@progbits,_Z6kernelI6reduceILN6hipcub20BlockReduceAlgorithmE2EEiLj64ELj3ELj100EEvPKT0_PS4_,comdat
	.protected	_Z6kernelI6reduceILN6hipcub20BlockReduceAlgorithmE2EEiLj64ELj3ELj100EEvPKT0_PS4_ ; -- Begin function _Z6kernelI6reduceILN6hipcub20BlockReduceAlgorithmE2EEiLj64ELj3ELj100EEvPKT0_PS4_
	.globl	_Z6kernelI6reduceILN6hipcub20BlockReduceAlgorithmE2EEiLj64ELj3ELj100EEvPKT0_PS4_
	.p2align	8
	.type	_Z6kernelI6reduceILN6hipcub20BlockReduceAlgorithmE2EEiLj64ELj3ELj100EEvPKT0_PS4_,@function
_Z6kernelI6reduceILN6hipcub20BlockReduceAlgorithmE2EEiLj64ELj3ELj100EEvPKT0_PS4_: ; @_Z6kernelI6reduceILN6hipcub20BlockReduceAlgorithmE2EEiLj64ELj3ELj100EEvPKT0_PS4_
; %bb.0:
	s_load_b32 s2, s[0:1], 0x1c
	s_mov_b32 s4, s15
	s_waitcnt lgkmcnt(0)
	s_and_b32 s2, s2, 0xffff
	s_delay_alu instid0(SALU_CYCLE_1) | instskip(SKIP_1) | instid1(VALU_DEP_1)
	v_mad_u64_u32 v[1:2], null, s4, s2, v[0:1]
	s_load_b128 s[0:3], s[0:1], 0x0
	v_lshl_add_u32 v1, v1, 1, v1
	s_delay_alu instid0(VALU_DEP_1) | instskip(NEXT) | instid1(VALU_DEP_1)
	v_dual_mov_b32 v2, 0 :: v_dual_add_nc_u32 v3, 1, v1
	v_mov_b32_e32 v4, v2
	v_lshlrev_b64 v[5:6], 2, v[1:2]
	v_add_nc_u32_e32 v1, 2, v1
	s_delay_alu instid0(VALU_DEP_3) | instskip(NEXT) | instid1(VALU_DEP_2)
	v_lshlrev_b64 v[3:4], 2, v[3:4]
	v_lshlrev_b64 v[1:2], 2, v[1:2]
	s_waitcnt lgkmcnt(0)
	s_delay_alu instid0(VALU_DEP_4) | instskip(SKIP_1) | instid1(VALU_DEP_4)
	v_add_co_u32 v5, vcc_lo, s0, v5
	v_add_co_ci_u32_e32 v6, vcc_lo, s1, v6, vcc_lo
	v_add_co_u32 v3, vcc_lo, s0, v3
	v_add_co_ci_u32_e32 v4, vcc_lo, s1, v4, vcc_lo
	;; [unrolled: 2-line block ×3, first 2 shown]
	s_clause 0x2
	global_load_b32 v1, v[5:6], off
	global_load_b32 v2, v[3:4], off
	;; [unrolled: 1-line block ×3, first 2 shown]
	v_dual_mov_b32 v5, 0x7c :: v_dual_lshlrev_b32 v4, 2, v0
	s_movk_i32 s0, 0x64
	.p2align	6
.LBB142_1:                              ; =>This Inner Loop Header: Depth=1
	s_waitcnt vmcnt(0) lgkmcnt(0)
	s_barrier
	buffer_gl0_inv
	ds_load_b32 v6, v4 offset:128
	v_add_nc_u32_e32 v1, v2, v1
	s_add_i32 s0, s0, -1
	s_delay_alu instid0(SALU_CYCLE_1) | instskip(SKIP_1) | instid1(VALU_DEP_1)
	s_cmp_eq_u32 s0, 0
	s_waitcnt lgkmcnt(0)
	v_add3_u32 v1, v1, v3, v6
	s_delay_alu instid0(VALU_DEP_1) | instskip(NEXT) | instid1(VALU_DEP_1)
	v_mov_b32_dpp v6, v1 quad_perm:[1,0,3,2] row_mask:0xf bank_mask:0xf
	v_add_nc_u32_e32 v1, v6, v1
	s_delay_alu instid0(VALU_DEP_1) | instskip(NEXT) | instid1(VALU_DEP_1)
	v_mov_b32_dpp v6, v1 quad_perm:[2,3,0,1] row_mask:0xf bank_mask:0xf
	v_add_nc_u32_e32 v1, v1, v6
	s_delay_alu instid0(VALU_DEP_1) | instskip(NEXT) | instid1(VALU_DEP_1)
	v_mov_b32_dpp v6, v1 row_ror:4 row_mask:0xf bank_mask:0xf
	v_add_nc_u32_e32 v1, v1, v6
	s_delay_alu instid0(VALU_DEP_1) | instskip(NEXT) | instid1(VALU_DEP_1)
	v_mov_b32_dpp v6, v1 row_ror:8 row_mask:0xf bank_mask:0xf
	v_add_nc_u32_e32 v1, v1, v6
	ds_swizzle_b32 v6, v1 offset:swizzle(BROADCAST,32,15)
	s_waitcnt lgkmcnt(0)
	v_add_nc_u32_e32 v1, v1, v6
	ds_bpermute_b32 v1, v5, v1
	s_cbranch_scc0 .LBB142_1
; %bb.2:
	s_mov_b32 s5, 0
	s_mov_b32 s0, exec_lo
	v_cmpx_eq_u32_e32 0, v0
	s_cbranch_execz .LBB142_4
; %bb.3:
	s_lshl_b64 s[0:1], s[4:5], 2
	v_mov_b32_e32 v0, 0
	s_add_u32 s0, s2, s0
	s_addc_u32 s1, s3, s1
	s_waitcnt lgkmcnt(0)
	global_store_b32 v0, v1, s[0:1]
.LBB142_4:
	s_nop 0
	s_sendmsg sendmsg(MSG_DEALLOC_VGPRS)
	s_endpgm
	.section	.rodata,"a",@progbits
	.p2align	6, 0x0
	.amdhsa_kernel _Z6kernelI6reduceILN6hipcub20BlockReduceAlgorithmE2EEiLj64ELj3ELj100EEvPKT0_PS4_
		.amdhsa_group_segment_fixed_size 256
		.amdhsa_private_segment_fixed_size 0
		.amdhsa_kernarg_size 272
		.amdhsa_user_sgpr_count 15
		.amdhsa_user_sgpr_dispatch_ptr 0
		.amdhsa_user_sgpr_queue_ptr 0
		.amdhsa_user_sgpr_kernarg_segment_ptr 1
		.amdhsa_user_sgpr_dispatch_id 0
		.amdhsa_user_sgpr_private_segment_size 0
		.amdhsa_wavefront_size32 1
		.amdhsa_uses_dynamic_stack 0
		.amdhsa_enable_private_segment 0
		.amdhsa_system_sgpr_workgroup_id_x 1
		.amdhsa_system_sgpr_workgroup_id_y 0
		.amdhsa_system_sgpr_workgroup_id_z 0
		.amdhsa_system_sgpr_workgroup_info 0
		.amdhsa_system_vgpr_workitem_id 0
		.amdhsa_next_free_vgpr 9
		.amdhsa_next_free_sgpr 16
		.amdhsa_reserve_vcc 1
		.amdhsa_float_round_mode_32 0
		.amdhsa_float_round_mode_16_64 0
		.amdhsa_float_denorm_mode_32 3
		.amdhsa_float_denorm_mode_16_64 3
		.amdhsa_dx10_clamp 1
		.amdhsa_ieee_mode 1
		.amdhsa_fp16_overflow 0
		.amdhsa_workgroup_processor_mode 1
		.amdhsa_memory_ordered 1
		.amdhsa_forward_progress 0
		.amdhsa_shared_vgpr_count 0
		.amdhsa_exception_fp_ieee_invalid_op 0
		.amdhsa_exception_fp_denorm_src 0
		.amdhsa_exception_fp_ieee_div_zero 0
		.amdhsa_exception_fp_ieee_overflow 0
		.amdhsa_exception_fp_ieee_underflow 0
		.amdhsa_exception_fp_ieee_inexact 0
		.amdhsa_exception_int_div_zero 0
	.end_amdhsa_kernel
	.section	.text._Z6kernelI6reduceILN6hipcub20BlockReduceAlgorithmE2EEiLj64ELj3ELj100EEvPKT0_PS4_,"axG",@progbits,_Z6kernelI6reduceILN6hipcub20BlockReduceAlgorithmE2EEiLj64ELj3ELj100EEvPKT0_PS4_,comdat
.Lfunc_end142:
	.size	_Z6kernelI6reduceILN6hipcub20BlockReduceAlgorithmE2EEiLj64ELj3ELj100EEvPKT0_PS4_, .Lfunc_end142-_Z6kernelI6reduceILN6hipcub20BlockReduceAlgorithmE2EEiLj64ELj3ELj100EEvPKT0_PS4_
                                        ; -- End function
	.section	.AMDGPU.csdata,"",@progbits
; Kernel info:
; codeLenInByte = 388
; NumSgprs: 18
; NumVgprs: 9
; ScratchSize: 0
; MemoryBound: 0
; FloatMode: 240
; IeeeMode: 1
; LDSByteSize: 256 bytes/workgroup (compile time only)
; SGPRBlocks: 2
; VGPRBlocks: 1
; NumSGPRsForWavesPerEU: 18
; NumVGPRsForWavesPerEU: 9
; Occupancy: 16
; WaveLimiterHint : 0
; COMPUTE_PGM_RSRC2:SCRATCH_EN: 0
; COMPUTE_PGM_RSRC2:USER_SGPR: 15
; COMPUTE_PGM_RSRC2:TRAP_HANDLER: 0
; COMPUTE_PGM_RSRC2:TGID_X_EN: 1
; COMPUTE_PGM_RSRC2:TGID_Y_EN: 0
; COMPUTE_PGM_RSRC2:TGID_Z_EN: 0
; COMPUTE_PGM_RSRC2:TIDIG_COMP_CNT: 0
	.section	.text._Z6kernelI6reduceILN6hipcub20BlockReduceAlgorithmE2EEiLj64ELj4ELj100EEvPKT0_PS4_,"axG",@progbits,_Z6kernelI6reduceILN6hipcub20BlockReduceAlgorithmE2EEiLj64ELj4ELj100EEvPKT0_PS4_,comdat
	.protected	_Z6kernelI6reduceILN6hipcub20BlockReduceAlgorithmE2EEiLj64ELj4ELj100EEvPKT0_PS4_ ; -- Begin function _Z6kernelI6reduceILN6hipcub20BlockReduceAlgorithmE2EEiLj64ELj4ELj100EEvPKT0_PS4_
	.globl	_Z6kernelI6reduceILN6hipcub20BlockReduceAlgorithmE2EEiLj64ELj4ELj100EEvPKT0_PS4_
	.p2align	8
	.type	_Z6kernelI6reduceILN6hipcub20BlockReduceAlgorithmE2EEiLj64ELj4ELj100EEvPKT0_PS4_,@function
_Z6kernelI6reduceILN6hipcub20BlockReduceAlgorithmE2EEiLj64ELj4ELj100EEvPKT0_PS4_: ; @_Z6kernelI6reduceILN6hipcub20BlockReduceAlgorithmE2EEiLj64ELj4ELj100EEvPKT0_PS4_
; %bb.0:
	s_clause 0x1
	s_load_b32 s5, s[0:1], 0x1c
	s_load_b128 s[0:3], s[0:1], 0x0
	v_dual_mov_b32 v2, 0 :: v_dual_lshlrev_b32 v5, 2, v0
	v_mov_b32_e32 v6, 0x7c
	s_mov_b32 s4, s15
	s_waitcnt lgkmcnt(0)
	s_and_b32 s5, s5, 0xffff
	s_delay_alu instid0(SALU_CYCLE_1) | instskip(NEXT) | instid1(SALU_CYCLE_1)
	s_mul_i32 s5, s15, s5
	v_add_lshl_u32 v1, s5, v0, 2
	s_delay_alu instid0(VALU_DEP_1) | instskip(NEXT) | instid1(VALU_DEP_1)
	v_lshlrev_b64 v[1:2], 2, v[1:2]
	v_add_co_u32 v1, vcc_lo, s0, v1
	s_delay_alu instid0(VALU_DEP_2)
	v_add_co_ci_u32_e32 v2, vcc_lo, s1, v2, vcc_lo
	s_movk_i32 s0, 0x64
	global_load_b128 v[1:4], v[1:2], off
	.p2align	6
.LBB143_1:                              ; =>This Inner Loop Header: Depth=1
	s_waitcnt vmcnt(0) lgkmcnt(0)
	s_barrier
	buffer_gl0_inv
	ds_load_b32 v7, v5 offset:128
	v_add3_u32 v1, v2, v1, v3
	s_add_i32 s0, s0, -1
	s_delay_alu instid0(SALU_CYCLE_1) | instskip(SKIP_1) | instid1(VALU_DEP_1)
	s_cmp_eq_u32 s0, 0
	s_waitcnt lgkmcnt(0)
	v_add3_u32 v1, v1, v4, v7
	s_delay_alu instid0(VALU_DEP_1) | instskip(NEXT) | instid1(VALU_DEP_1)
	v_mov_b32_dpp v7, v1 quad_perm:[1,0,3,2] row_mask:0xf bank_mask:0xf
	v_add_nc_u32_e32 v1, v7, v1
	s_delay_alu instid0(VALU_DEP_1) | instskip(NEXT) | instid1(VALU_DEP_1)
	v_mov_b32_dpp v7, v1 quad_perm:[2,3,0,1] row_mask:0xf bank_mask:0xf
	v_add_nc_u32_e32 v1, v1, v7
	s_delay_alu instid0(VALU_DEP_1) | instskip(NEXT) | instid1(VALU_DEP_1)
	v_mov_b32_dpp v7, v1 row_ror:4 row_mask:0xf bank_mask:0xf
	v_add_nc_u32_e32 v1, v1, v7
	s_delay_alu instid0(VALU_DEP_1) | instskip(NEXT) | instid1(VALU_DEP_1)
	v_mov_b32_dpp v7, v1 row_ror:8 row_mask:0xf bank_mask:0xf
	v_add_nc_u32_e32 v1, v1, v7
	ds_swizzle_b32 v7, v1 offset:swizzle(BROADCAST,32,15)
	s_waitcnt lgkmcnt(0)
	v_add_nc_u32_e32 v1, v1, v7
	ds_bpermute_b32 v1, v6, v1
	s_cbranch_scc0 .LBB143_1
; %bb.2:
	s_mov_b32 s5, 0
	s_mov_b32 s0, exec_lo
	v_cmpx_eq_u32_e32 0, v0
	s_cbranch_execz .LBB143_4
; %bb.3:
	s_lshl_b64 s[0:1], s[4:5], 2
	v_mov_b32_e32 v0, 0
	s_add_u32 s0, s2, s0
	s_addc_u32 s1, s3, s1
	s_waitcnt lgkmcnt(0)
	global_store_b32 v0, v1, s[0:1]
.LBB143_4:
	s_nop 0
	s_sendmsg sendmsg(MSG_DEALLOC_VGPRS)
	s_endpgm
	.section	.rodata,"a",@progbits
	.p2align	6, 0x0
	.amdhsa_kernel _Z6kernelI6reduceILN6hipcub20BlockReduceAlgorithmE2EEiLj64ELj4ELj100EEvPKT0_PS4_
		.amdhsa_group_segment_fixed_size 256
		.amdhsa_private_segment_fixed_size 0
		.amdhsa_kernarg_size 272
		.amdhsa_user_sgpr_count 15
		.amdhsa_user_sgpr_dispatch_ptr 0
		.amdhsa_user_sgpr_queue_ptr 0
		.amdhsa_user_sgpr_kernarg_segment_ptr 1
		.amdhsa_user_sgpr_dispatch_id 0
		.amdhsa_user_sgpr_private_segment_size 0
		.amdhsa_wavefront_size32 1
		.amdhsa_uses_dynamic_stack 0
		.amdhsa_enable_private_segment 0
		.amdhsa_system_sgpr_workgroup_id_x 1
		.amdhsa_system_sgpr_workgroup_id_y 0
		.amdhsa_system_sgpr_workgroup_id_z 0
		.amdhsa_system_sgpr_workgroup_info 0
		.amdhsa_system_vgpr_workitem_id 0
		.amdhsa_next_free_vgpr 8
		.amdhsa_next_free_sgpr 16
		.amdhsa_reserve_vcc 1
		.amdhsa_float_round_mode_32 0
		.amdhsa_float_round_mode_16_64 0
		.amdhsa_float_denorm_mode_32 3
		.amdhsa_float_denorm_mode_16_64 3
		.amdhsa_dx10_clamp 1
		.amdhsa_ieee_mode 1
		.amdhsa_fp16_overflow 0
		.amdhsa_workgroup_processor_mode 1
		.amdhsa_memory_ordered 1
		.amdhsa_forward_progress 0
		.amdhsa_shared_vgpr_count 0
		.amdhsa_exception_fp_ieee_invalid_op 0
		.amdhsa_exception_fp_denorm_src 0
		.amdhsa_exception_fp_ieee_div_zero 0
		.amdhsa_exception_fp_ieee_overflow 0
		.amdhsa_exception_fp_ieee_underflow 0
		.amdhsa_exception_fp_ieee_inexact 0
		.amdhsa_exception_int_div_zero 0
	.end_amdhsa_kernel
	.section	.text._Z6kernelI6reduceILN6hipcub20BlockReduceAlgorithmE2EEiLj64ELj4ELj100EEvPKT0_PS4_,"axG",@progbits,_Z6kernelI6reduceILN6hipcub20BlockReduceAlgorithmE2EEiLj64ELj4ELj100EEvPKT0_PS4_,comdat
.Lfunc_end143:
	.size	_Z6kernelI6reduceILN6hipcub20BlockReduceAlgorithmE2EEiLj64ELj4ELj100EEvPKT0_PS4_, .Lfunc_end143-_Z6kernelI6reduceILN6hipcub20BlockReduceAlgorithmE2EEiLj64ELj4ELj100EEvPKT0_PS4_
                                        ; -- End function
	.section	.AMDGPU.csdata,"",@progbits
; Kernel info:
; codeLenInByte = 312
; NumSgprs: 18
; NumVgprs: 8
; ScratchSize: 0
; MemoryBound: 0
; FloatMode: 240
; IeeeMode: 1
; LDSByteSize: 256 bytes/workgroup (compile time only)
; SGPRBlocks: 2
; VGPRBlocks: 0
; NumSGPRsForWavesPerEU: 18
; NumVGPRsForWavesPerEU: 8
; Occupancy: 16
; WaveLimiterHint : 0
; COMPUTE_PGM_RSRC2:SCRATCH_EN: 0
; COMPUTE_PGM_RSRC2:USER_SGPR: 15
; COMPUTE_PGM_RSRC2:TRAP_HANDLER: 0
; COMPUTE_PGM_RSRC2:TGID_X_EN: 1
; COMPUTE_PGM_RSRC2:TGID_Y_EN: 0
; COMPUTE_PGM_RSRC2:TGID_Z_EN: 0
; COMPUTE_PGM_RSRC2:TIDIG_COMP_CNT: 0
	.section	.text._Z6kernelI6reduceILN6hipcub20BlockReduceAlgorithmE2EEiLj64ELj8ELj100EEvPKT0_PS4_,"axG",@progbits,_Z6kernelI6reduceILN6hipcub20BlockReduceAlgorithmE2EEiLj64ELj8ELj100EEvPKT0_PS4_,comdat
	.protected	_Z6kernelI6reduceILN6hipcub20BlockReduceAlgorithmE2EEiLj64ELj8ELj100EEvPKT0_PS4_ ; -- Begin function _Z6kernelI6reduceILN6hipcub20BlockReduceAlgorithmE2EEiLj64ELj8ELj100EEvPKT0_PS4_
	.globl	_Z6kernelI6reduceILN6hipcub20BlockReduceAlgorithmE2EEiLj64ELj8ELj100EEvPKT0_PS4_
	.p2align	8
	.type	_Z6kernelI6reduceILN6hipcub20BlockReduceAlgorithmE2EEiLj64ELj8ELj100EEvPKT0_PS4_,@function
_Z6kernelI6reduceILN6hipcub20BlockReduceAlgorithmE2EEiLj64ELj8ELj100EEvPKT0_PS4_: ; @_Z6kernelI6reduceILN6hipcub20BlockReduceAlgorithmE2EEiLj64ELj8ELj100EEvPKT0_PS4_
; %bb.0:
	s_clause 0x1
	s_load_b32 s5, s[0:1], 0x1c
	s_load_b128 s[0:3], s[0:1], 0x0
	v_dual_mov_b32 v2, 0 :: v_dual_lshlrev_b32 v9, 2, v0
	v_mov_b32_e32 v10, 0x7c
	s_mov_b32 s4, s15
	s_waitcnt lgkmcnt(0)
	s_and_b32 s5, s5, 0xffff
	s_delay_alu instid0(SALU_CYCLE_1) | instskip(NEXT) | instid1(SALU_CYCLE_1)
	s_mul_i32 s5, s15, s5
	v_add_lshl_u32 v1, s5, v0, 3
	s_delay_alu instid0(VALU_DEP_1) | instskip(NEXT) | instid1(VALU_DEP_1)
	v_lshlrev_b64 v[1:2], 2, v[1:2]
	v_add_co_u32 v5, vcc_lo, s0, v1
	s_delay_alu instid0(VALU_DEP_2)
	v_add_co_ci_u32_e32 v6, vcc_lo, s1, v2, vcc_lo
	s_movk_i32 s0, 0x64
	s_clause 0x1
	global_load_b128 v[1:4], v[5:6], off
	global_load_b128 v[5:8], v[5:6], off offset:16
	.p2align	6
.LBB144_1:                              ; =>This Inner Loop Header: Depth=1
	s_waitcnt vmcnt(0) lgkmcnt(0)
	s_barrier
	buffer_gl0_inv
	ds_load_b32 v11, v9 offset:128
	v_add3_u32 v1, v2, v1, v3
	s_add_i32 s0, s0, -1
	s_delay_alu instid0(SALU_CYCLE_1) | instskip(NEXT) | instid1(VALU_DEP_1)
	s_cmp_eq_u32 s0, 0
	v_add3_u32 v1, v1, v4, v5
	s_delay_alu instid0(VALU_DEP_1) | instskip(SKIP_1) | instid1(VALU_DEP_1)
	v_add3_u32 v1, v1, v6, v7
	s_waitcnt lgkmcnt(0)
	v_add3_u32 v1, v1, v8, v11
	s_delay_alu instid0(VALU_DEP_1) | instskip(NEXT) | instid1(VALU_DEP_1)
	v_mov_b32_dpp v11, v1 quad_perm:[1,0,3,2] row_mask:0xf bank_mask:0xf
	v_add_nc_u32_e32 v1, v1, v11
	s_delay_alu instid0(VALU_DEP_1) | instskip(NEXT) | instid1(VALU_DEP_1)
	v_mov_b32_dpp v11, v1 quad_perm:[2,3,0,1] row_mask:0xf bank_mask:0xf
	v_add_nc_u32_e32 v1, v1, v11
	s_delay_alu instid0(VALU_DEP_1) | instskip(NEXT) | instid1(VALU_DEP_1)
	v_mov_b32_dpp v11, v1 row_ror:4 row_mask:0xf bank_mask:0xf
	v_add_nc_u32_e32 v1, v1, v11
	s_delay_alu instid0(VALU_DEP_1) | instskip(NEXT) | instid1(VALU_DEP_1)
	v_mov_b32_dpp v11, v1 row_ror:8 row_mask:0xf bank_mask:0xf
	v_add_nc_u32_e32 v1, v1, v11
	ds_swizzle_b32 v11, v1 offset:swizzle(BROADCAST,32,15)
	s_waitcnt lgkmcnt(0)
	v_add_nc_u32_e32 v1, v1, v11
	ds_bpermute_b32 v1, v10, v1
	s_cbranch_scc0 .LBB144_1
; %bb.2:
	s_mov_b32 s5, 0
	s_mov_b32 s0, exec_lo
	v_cmpx_eq_u32_e32 0, v0
	s_cbranch_execz .LBB144_4
; %bb.3:
	s_lshl_b64 s[0:1], s[4:5], 2
	v_mov_b32_e32 v0, 0
	s_add_u32 s0, s2, s0
	s_addc_u32 s1, s3, s1
	s_waitcnt lgkmcnt(0)
	global_store_b32 v0, v1, s[0:1]
.LBB144_4:
	s_nop 0
	s_sendmsg sendmsg(MSG_DEALLOC_VGPRS)
	s_endpgm
	.section	.rodata,"a",@progbits
	.p2align	6, 0x0
	.amdhsa_kernel _Z6kernelI6reduceILN6hipcub20BlockReduceAlgorithmE2EEiLj64ELj8ELj100EEvPKT0_PS4_
		.amdhsa_group_segment_fixed_size 256
		.amdhsa_private_segment_fixed_size 0
		.amdhsa_kernarg_size 272
		.amdhsa_user_sgpr_count 15
		.amdhsa_user_sgpr_dispatch_ptr 0
		.amdhsa_user_sgpr_queue_ptr 0
		.amdhsa_user_sgpr_kernarg_segment_ptr 1
		.amdhsa_user_sgpr_dispatch_id 0
		.amdhsa_user_sgpr_private_segment_size 0
		.amdhsa_wavefront_size32 1
		.amdhsa_uses_dynamic_stack 0
		.amdhsa_enable_private_segment 0
		.amdhsa_system_sgpr_workgroup_id_x 1
		.amdhsa_system_sgpr_workgroup_id_y 0
		.amdhsa_system_sgpr_workgroup_id_z 0
		.amdhsa_system_sgpr_workgroup_info 0
		.amdhsa_system_vgpr_workitem_id 0
		.amdhsa_next_free_vgpr 12
		.amdhsa_next_free_sgpr 16
		.amdhsa_reserve_vcc 1
		.amdhsa_float_round_mode_32 0
		.amdhsa_float_round_mode_16_64 0
		.amdhsa_float_denorm_mode_32 3
		.amdhsa_float_denorm_mode_16_64 3
		.amdhsa_dx10_clamp 1
		.amdhsa_ieee_mode 1
		.amdhsa_fp16_overflow 0
		.amdhsa_workgroup_processor_mode 1
		.amdhsa_memory_ordered 1
		.amdhsa_forward_progress 0
		.amdhsa_shared_vgpr_count 0
		.amdhsa_exception_fp_ieee_invalid_op 0
		.amdhsa_exception_fp_denorm_src 0
		.amdhsa_exception_fp_ieee_div_zero 0
		.amdhsa_exception_fp_ieee_overflow 0
		.amdhsa_exception_fp_ieee_underflow 0
		.amdhsa_exception_fp_ieee_inexact 0
		.amdhsa_exception_int_div_zero 0
	.end_amdhsa_kernel
	.section	.text._Z6kernelI6reduceILN6hipcub20BlockReduceAlgorithmE2EEiLj64ELj8ELj100EEvPKT0_PS4_,"axG",@progbits,_Z6kernelI6reduceILN6hipcub20BlockReduceAlgorithmE2EEiLj64ELj8ELj100EEvPKT0_PS4_,comdat
.Lfunc_end144:
	.size	_Z6kernelI6reduceILN6hipcub20BlockReduceAlgorithmE2EEiLj64ELj8ELj100EEvPKT0_PS4_, .Lfunc_end144-_Z6kernelI6reduceILN6hipcub20BlockReduceAlgorithmE2EEiLj64ELj8ELj100EEvPKT0_PS4_
                                        ; -- End function
	.section	.AMDGPU.csdata,"",@progbits
; Kernel info:
; codeLenInByte = 344
; NumSgprs: 18
; NumVgprs: 12
; ScratchSize: 0
; MemoryBound: 0
; FloatMode: 240
; IeeeMode: 1
; LDSByteSize: 256 bytes/workgroup (compile time only)
; SGPRBlocks: 2
; VGPRBlocks: 1
; NumSGPRsForWavesPerEU: 18
; NumVGPRsForWavesPerEU: 12
; Occupancy: 16
; WaveLimiterHint : 0
; COMPUTE_PGM_RSRC2:SCRATCH_EN: 0
; COMPUTE_PGM_RSRC2:USER_SGPR: 15
; COMPUTE_PGM_RSRC2:TRAP_HANDLER: 0
; COMPUTE_PGM_RSRC2:TGID_X_EN: 1
; COMPUTE_PGM_RSRC2:TGID_Y_EN: 0
; COMPUTE_PGM_RSRC2:TGID_Z_EN: 0
; COMPUTE_PGM_RSRC2:TIDIG_COMP_CNT: 0
	.section	.text._Z6kernelI6reduceILN6hipcub20BlockReduceAlgorithmE2EEiLj64ELj11ELj100EEvPKT0_PS4_,"axG",@progbits,_Z6kernelI6reduceILN6hipcub20BlockReduceAlgorithmE2EEiLj64ELj11ELj100EEvPKT0_PS4_,comdat
	.protected	_Z6kernelI6reduceILN6hipcub20BlockReduceAlgorithmE2EEiLj64ELj11ELj100EEvPKT0_PS4_ ; -- Begin function _Z6kernelI6reduceILN6hipcub20BlockReduceAlgorithmE2EEiLj64ELj11ELj100EEvPKT0_PS4_
	.globl	_Z6kernelI6reduceILN6hipcub20BlockReduceAlgorithmE2EEiLj64ELj11ELj100EEvPKT0_PS4_
	.p2align	8
	.type	_Z6kernelI6reduceILN6hipcub20BlockReduceAlgorithmE2EEiLj64ELj11ELj100EEvPKT0_PS4_,@function
_Z6kernelI6reduceILN6hipcub20BlockReduceAlgorithmE2EEiLj64ELj11ELj100EEvPKT0_PS4_: ; @_Z6kernelI6reduceILN6hipcub20BlockReduceAlgorithmE2EEiLj64ELj11ELj100EEvPKT0_PS4_
; %bb.0:
	s_load_b32 s2, s[0:1], 0x1c
	s_mov_b32 s4, s15
	s_waitcnt lgkmcnt(0)
	s_and_b32 s2, s2, 0xffff
	s_delay_alu instid0(SALU_CYCLE_1) | instskip(SKIP_1) | instid1(VALU_DEP_1)
	v_mad_u64_u32 v[1:2], null, s4, s2, v[0:1]
	s_load_b128 s[0:3], s[0:1], 0x0
	v_mul_lo_u32 v1, v1, 11
	s_delay_alu instid0(VALU_DEP_1) | instskip(NEXT) | instid1(VALU_DEP_1)
	v_dual_mov_b32 v2, 0 :: v_dual_add_nc_u32 v3, 1, v1
	v_dual_mov_b32 v4, v2 :: v_dual_add_nc_u32 v5, 2, v1
	;; [unrolled: 1-line block ×4, first 2 shown]
	s_delay_alu instid0(VALU_DEP_3) | instskip(NEXT) | instid1(VALU_DEP_3)
	v_lshlrev_b64 v[3:4], 2, v[3:4]
	v_lshlrev_b64 v[5:6], 2, v[5:6]
	v_dual_mov_b32 v10, v2 :: v_dual_add_nc_u32 v11, 5, v1
	s_delay_alu instid0(VALU_DEP_4)
	v_lshlrev_b64 v[7:8], 2, v[7:8]
	v_dual_mov_b32 v12, v2 :: v_dual_add_nc_u32 v13, 6, v1
	s_waitcnt lgkmcnt(0)
	v_add_co_u32 v3, vcc_lo, s0, v3
	v_add_co_ci_u32_e32 v4, vcc_lo, s1, v4, vcc_lo
	v_lshlrev_b64 v[9:10], 2, v[9:10]
	v_add_co_u32 v5, vcc_lo, s0, v5
	v_dual_mov_b32 v14, v2 :: v_dual_add_nc_u32 v15, 7, v1
	v_add_co_ci_u32_e32 v6, vcc_lo, s1, v6, vcc_lo
	v_lshlrev_b64 v[11:12], 2, v[11:12]
	v_add_co_u32 v7, vcc_lo, s0, v7
	v_dual_mov_b32 v16, v2 :: v_dual_add_nc_u32 v19, 8, v1
	;; [unrolled: 4-line block ×3, first 2 shown]
	v_add_co_ci_u32_e32 v10, vcc_lo, s1, v10, vcc_lo
	v_lshlrev_b64 v[15:16], 2, v[15:16]
	v_add_co_u32 v11, vcc_lo, s0, v11
	v_add_co_ci_u32_e32 v12, vcc_lo, s1, v12, vcc_lo
	v_add_co_u32 v13, vcc_lo, s0, v13
	v_lshlrev_b64 v[19:20], 2, v[19:20]
	v_mov_b32_e32 v22, v2
	v_add_co_ci_u32_e32 v14, vcc_lo, s1, v14, vcc_lo
	v_add_co_u32 v15, vcc_lo, s0, v15
	v_lshlrev_b64 v[17:18], 2, v[1:2]
	v_add_nc_u32_e32 v1, 10, v1
	v_add_co_ci_u32_e32 v16, vcc_lo, s1, v16, vcc_lo
	v_add_co_u32 v19, vcc_lo, s0, v19
	v_lshlrev_b64 v[21:22], 2, v[21:22]
	v_add_co_ci_u32_e32 v20, vcc_lo, s1, v20, vcc_lo
	s_clause 0x7
	global_load_b32 v23, v[3:4], off
	global_load_b32 v24, v[5:6], off
	;; [unrolled: 1-line block ×8, first 2 shown]
	v_lshlrev_b64 v[1:2], 2, v[1:2]
	v_add_co_u32 v3, vcc_lo, s0, v21
	v_add_co_ci_u32_e32 v4, vcc_lo, s1, v22, vcc_lo
	s_delay_alu instid0(VALU_DEP_3) | instskip(NEXT) | instid1(VALU_DEP_4)
	v_add_co_u32 v1, vcc_lo, s0, v1
	v_add_co_ci_u32_e32 v2, vcc_lo, s1, v2, vcc_lo
	v_add_co_u32 v5, vcc_lo, s0, v17
	v_add_co_ci_u32_e32 v6, vcc_lo, s1, v18, vcc_lo
	s_clause 0x2
	global_load_b32 v4, v[3:4], off
	global_load_b32 v13, v[1:2], off
	;; [unrolled: 1-line block ×3, first 2 shown]
	s_movk_i32 s0, 0x64
	s_waitcnt vmcnt(9)
	v_dual_mov_b32 v3, 0x7c :: v_dual_add_nc_u32 v2, v24, v23
	s_waitcnt vmcnt(7)
	s_delay_alu instid0(VALU_DEP_1) | instskip(SKIP_1) | instid1(VALU_DEP_1)
	v_add3_u32 v2, v2, v7, v8
	s_waitcnt vmcnt(5)
	v_add3_u32 v2, v2, v9, v10
	s_waitcnt vmcnt(3)
	s_delay_alu instid0(VALU_DEP_1) | instskip(SKIP_2) | instid1(VALU_DEP_2)
	v_add3_u32 v5, v2, v11, v12
	v_lshlrev_b32_e32 v2, 2, v0
	s_waitcnt vmcnt(1)
	v_add3_u32 v4, v5, v4, v13
	.p2align	6
.LBB145_1:                              ; =>This Inner Loop Header: Depth=1
	s_waitcnt vmcnt(0) lgkmcnt(0)
	s_barrier
	buffer_gl0_inv
	ds_load_b32 v5, v2 offset:128
	s_add_i32 s0, s0, -1
	s_delay_alu instid0(SALU_CYCLE_1) | instskip(SKIP_2) | instid1(VALU_DEP_1)
	s_cmp_eq_u32 s0, 0
	s_waitcnt lgkmcnt(0)
	v_add3_u32 v1, v4, v1, v5
	v_mov_b32_dpp v5, v1 quad_perm:[1,0,3,2] row_mask:0xf bank_mask:0xf
	s_delay_alu instid0(VALU_DEP_1) | instskip(NEXT) | instid1(VALU_DEP_1)
	v_add_nc_u32_e32 v1, v1, v5
	v_mov_b32_dpp v5, v1 quad_perm:[2,3,0,1] row_mask:0xf bank_mask:0xf
	s_delay_alu instid0(VALU_DEP_1) | instskip(NEXT) | instid1(VALU_DEP_1)
	v_add_nc_u32_e32 v1, v1, v5
	v_mov_b32_dpp v5, v1 row_ror:4 row_mask:0xf bank_mask:0xf
	s_delay_alu instid0(VALU_DEP_1) | instskip(NEXT) | instid1(VALU_DEP_1)
	v_add_nc_u32_e32 v1, v1, v5
	v_mov_b32_dpp v5, v1 row_ror:8 row_mask:0xf bank_mask:0xf
	s_delay_alu instid0(VALU_DEP_1)
	v_add_nc_u32_e32 v1, v1, v5
	ds_swizzle_b32 v5, v1 offset:swizzle(BROADCAST,32,15)
	s_waitcnt lgkmcnt(0)
	v_add_nc_u32_e32 v1, v1, v5
	ds_bpermute_b32 v1, v3, v1
	s_cbranch_scc0 .LBB145_1
; %bb.2:
	s_mov_b32 s5, 0
	s_mov_b32 s0, exec_lo
	v_cmpx_eq_u32_e32 0, v0
	s_cbranch_execz .LBB145_4
; %bb.3:
	s_lshl_b64 s[0:1], s[4:5], 2
	v_mov_b32_e32 v0, 0
	s_add_u32 s0, s2, s0
	s_addc_u32 s1, s3, s1
	s_waitcnt lgkmcnt(0)
	global_store_b32 v0, v1, s[0:1]
.LBB145_4:
	s_nop 0
	s_sendmsg sendmsg(MSG_DEALLOC_VGPRS)
	s_endpgm
	.section	.rodata,"a",@progbits
	.p2align	6, 0x0
	.amdhsa_kernel _Z6kernelI6reduceILN6hipcub20BlockReduceAlgorithmE2EEiLj64ELj11ELj100EEvPKT0_PS4_
		.amdhsa_group_segment_fixed_size 256
		.amdhsa_private_segment_fixed_size 0
		.amdhsa_kernarg_size 272
		.amdhsa_user_sgpr_count 15
		.amdhsa_user_sgpr_dispatch_ptr 0
		.amdhsa_user_sgpr_queue_ptr 0
		.amdhsa_user_sgpr_kernarg_segment_ptr 1
		.amdhsa_user_sgpr_dispatch_id 0
		.amdhsa_user_sgpr_private_segment_size 0
		.amdhsa_wavefront_size32 1
		.amdhsa_uses_dynamic_stack 0
		.amdhsa_enable_private_segment 0
		.amdhsa_system_sgpr_workgroup_id_x 1
		.amdhsa_system_sgpr_workgroup_id_y 0
		.amdhsa_system_sgpr_workgroup_id_z 0
		.amdhsa_system_sgpr_workgroup_info 0
		.amdhsa_system_vgpr_workitem_id 0
		.amdhsa_next_free_vgpr 25
		.amdhsa_next_free_sgpr 16
		.amdhsa_reserve_vcc 1
		.amdhsa_float_round_mode_32 0
		.amdhsa_float_round_mode_16_64 0
		.amdhsa_float_denorm_mode_32 3
		.amdhsa_float_denorm_mode_16_64 3
		.amdhsa_dx10_clamp 1
		.amdhsa_ieee_mode 1
		.amdhsa_fp16_overflow 0
		.amdhsa_workgroup_processor_mode 1
		.amdhsa_memory_ordered 1
		.amdhsa_forward_progress 0
		.amdhsa_shared_vgpr_count 0
		.amdhsa_exception_fp_ieee_invalid_op 0
		.amdhsa_exception_fp_denorm_src 0
		.amdhsa_exception_fp_ieee_div_zero 0
		.amdhsa_exception_fp_ieee_overflow 0
		.amdhsa_exception_fp_ieee_underflow 0
		.amdhsa_exception_fp_ieee_inexact 0
		.amdhsa_exception_int_div_zero 0
	.end_amdhsa_kernel
	.section	.text._Z6kernelI6reduceILN6hipcub20BlockReduceAlgorithmE2EEiLj64ELj11ELj100EEvPKT0_PS4_,"axG",@progbits,_Z6kernelI6reduceILN6hipcub20BlockReduceAlgorithmE2EEiLj64ELj11ELj100EEvPKT0_PS4_,comdat
.Lfunc_end145:
	.size	_Z6kernelI6reduceILN6hipcub20BlockReduceAlgorithmE2EEiLj64ELj11ELj100EEvPKT0_PS4_, .Lfunc_end145-_Z6kernelI6reduceILN6hipcub20BlockReduceAlgorithmE2EEiLj64ELj11ELj100EEvPKT0_PS4_
                                        ; -- End function
	.section	.AMDGPU.csdata,"",@progbits
; Kernel info:
; codeLenInByte = 744
; NumSgprs: 18
; NumVgprs: 25
; ScratchSize: 0
; MemoryBound: 0
; FloatMode: 240
; IeeeMode: 1
; LDSByteSize: 256 bytes/workgroup (compile time only)
; SGPRBlocks: 2
; VGPRBlocks: 3
; NumSGPRsForWavesPerEU: 18
; NumVGPRsForWavesPerEU: 25
; Occupancy: 16
; WaveLimiterHint : 0
; COMPUTE_PGM_RSRC2:SCRATCH_EN: 0
; COMPUTE_PGM_RSRC2:USER_SGPR: 15
; COMPUTE_PGM_RSRC2:TRAP_HANDLER: 0
; COMPUTE_PGM_RSRC2:TGID_X_EN: 1
; COMPUTE_PGM_RSRC2:TGID_Y_EN: 0
; COMPUTE_PGM_RSRC2:TGID_Z_EN: 0
; COMPUTE_PGM_RSRC2:TIDIG_COMP_CNT: 0
	.section	.text._Z6kernelI6reduceILN6hipcub20BlockReduceAlgorithmE2EEiLj64ELj16ELj100EEvPKT0_PS4_,"axG",@progbits,_Z6kernelI6reduceILN6hipcub20BlockReduceAlgorithmE2EEiLj64ELj16ELj100EEvPKT0_PS4_,comdat
	.protected	_Z6kernelI6reduceILN6hipcub20BlockReduceAlgorithmE2EEiLj64ELj16ELj100EEvPKT0_PS4_ ; -- Begin function _Z6kernelI6reduceILN6hipcub20BlockReduceAlgorithmE2EEiLj64ELj16ELj100EEvPKT0_PS4_
	.globl	_Z6kernelI6reduceILN6hipcub20BlockReduceAlgorithmE2EEiLj64ELj16ELj100EEvPKT0_PS4_
	.p2align	8
	.type	_Z6kernelI6reduceILN6hipcub20BlockReduceAlgorithmE2EEiLj64ELj16ELj100EEvPKT0_PS4_,@function
_Z6kernelI6reduceILN6hipcub20BlockReduceAlgorithmE2EEiLj64ELj16ELj100EEvPKT0_PS4_: ; @_Z6kernelI6reduceILN6hipcub20BlockReduceAlgorithmE2EEiLj64ELj16ELj100EEvPKT0_PS4_
; %bb.0:
	s_clause 0x1
	s_load_b32 s5, s[0:1], 0x1c
	s_load_b128 s[0:3], s[0:1], 0x0
	v_mov_b32_e32 v2, 0
	s_mov_b32 s4, s15
	s_waitcnt lgkmcnt(0)
	s_and_b32 s5, s5, 0xffff
	s_delay_alu instid0(SALU_CYCLE_1) | instskip(NEXT) | instid1(SALU_CYCLE_1)
	s_mul_i32 s5, s15, s5
	v_add_lshl_u32 v1, s5, v0, 4
	s_delay_alu instid0(VALU_DEP_1) | instskip(NEXT) | instid1(VALU_DEP_1)
	v_lshlrev_b64 v[1:2], 2, v[1:2]
	v_add_co_u32 v13, vcc_lo, s0, v1
	s_delay_alu instid0(VALU_DEP_2)
	v_add_co_ci_u32_e32 v14, vcc_lo, s1, v2, vcc_lo
	s_movk_i32 s0, 0x64
	s_clause 0x3
	global_load_b128 v[1:4], v[13:14], off
	global_load_b128 v[5:8], v[13:14], off offset:16
	global_load_b128 v[9:12], v[13:14], off offset:32
	;; [unrolled: 1-line block ×3, first 2 shown]
	s_waitcnt vmcnt(3)
	v_add3_u32 v2, v3, v2, v4
	v_mov_b32_e32 v3, 0x7c
	s_waitcnt vmcnt(2)
	s_delay_alu instid0(VALU_DEP_2) | instskip(NEXT) | instid1(VALU_DEP_1)
	v_add3_u32 v2, v2, v5, v6
	v_add3_u32 v2, v2, v7, v8
	s_waitcnt vmcnt(1)
	s_delay_alu instid0(VALU_DEP_1) | instskip(NEXT) | instid1(VALU_DEP_1)
	v_add3_u32 v2, v2, v9, v10
	v_add3_u32 v2, v2, v11, v12
	s_waitcnt vmcnt(0)
	s_delay_alu instid0(VALU_DEP_1) | instskip(SKIP_1) | instid1(VALU_DEP_2)
	v_add3_u32 v4, v2, v13, v14
	v_lshlrev_b32_e32 v2, 2, v0
	v_add3_u32 v4, v4, v15, v16
	.p2align	6
.LBB146_1:                              ; =>This Inner Loop Header: Depth=1
	s_waitcnt lgkmcnt(0)
	s_barrier
	buffer_gl0_inv
	ds_load_b32 v5, v2 offset:128
	s_add_i32 s0, s0, -1
	s_delay_alu instid0(SALU_CYCLE_1) | instskip(SKIP_2) | instid1(VALU_DEP_1)
	s_cmp_eq_u32 s0, 0
	s_waitcnt lgkmcnt(0)
	v_add3_u32 v1, v4, v1, v5
	v_mov_b32_dpp v5, v1 quad_perm:[1,0,3,2] row_mask:0xf bank_mask:0xf
	s_delay_alu instid0(VALU_DEP_1) | instskip(NEXT) | instid1(VALU_DEP_1)
	v_add_nc_u32_e32 v1, v1, v5
	v_mov_b32_dpp v5, v1 quad_perm:[2,3,0,1] row_mask:0xf bank_mask:0xf
	s_delay_alu instid0(VALU_DEP_1) | instskip(NEXT) | instid1(VALU_DEP_1)
	v_add_nc_u32_e32 v1, v1, v5
	v_mov_b32_dpp v5, v1 row_ror:4 row_mask:0xf bank_mask:0xf
	s_delay_alu instid0(VALU_DEP_1) | instskip(NEXT) | instid1(VALU_DEP_1)
	v_add_nc_u32_e32 v1, v1, v5
	v_mov_b32_dpp v5, v1 row_ror:8 row_mask:0xf bank_mask:0xf
	s_delay_alu instid0(VALU_DEP_1)
	v_add_nc_u32_e32 v1, v1, v5
	ds_swizzle_b32 v5, v1 offset:swizzle(BROADCAST,32,15)
	s_waitcnt lgkmcnt(0)
	v_add_nc_u32_e32 v1, v1, v5
	ds_bpermute_b32 v1, v3, v1
	s_cbranch_scc0 .LBB146_1
; %bb.2:
	s_mov_b32 s5, 0
	s_mov_b32 s0, exec_lo
	v_cmpx_eq_u32_e32 0, v0
	s_cbranch_execz .LBB146_4
; %bb.3:
	s_lshl_b64 s[0:1], s[4:5], 2
	v_mov_b32_e32 v0, 0
	s_add_u32 s0, s2, s0
	s_addc_u32 s1, s3, s1
	s_waitcnt lgkmcnt(0)
	global_store_b32 v0, v1, s[0:1]
.LBB146_4:
	s_nop 0
	s_sendmsg sendmsg(MSG_DEALLOC_VGPRS)
	s_endpgm
	.section	.rodata,"a",@progbits
	.p2align	6, 0x0
	.amdhsa_kernel _Z6kernelI6reduceILN6hipcub20BlockReduceAlgorithmE2EEiLj64ELj16ELj100EEvPKT0_PS4_
		.amdhsa_group_segment_fixed_size 256
		.amdhsa_private_segment_fixed_size 0
		.amdhsa_kernarg_size 272
		.amdhsa_user_sgpr_count 15
		.amdhsa_user_sgpr_dispatch_ptr 0
		.amdhsa_user_sgpr_queue_ptr 0
		.amdhsa_user_sgpr_kernarg_segment_ptr 1
		.amdhsa_user_sgpr_dispatch_id 0
		.amdhsa_user_sgpr_private_segment_size 0
		.amdhsa_wavefront_size32 1
		.amdhsa_uses_dynamic_stack 0
		.amdhsa_enable_private_segment 0
		.amdhsa_system_sgpr_workgroup_id_x 1
		.amdhsa_system_sgpr_workgroup_id_y 0
		.amdhsa_system_sgpr_workgroup_id_z 0
		.amdhsa_system_sgpr_workgroup_info 0
		.amdhsa_system_vgpr_workitem_id 0
		.amdhsa_next_free_vgpr 17
		.amdhsa_next_free_sgpr 16
		.amdhsa_reserve_vcc 1
		.amdhsa_float_round_mode_32 0
		.amdhsa_float_round_mode_16_64 0
		.amdhsa_float_denorm_mode_32 3
		.amdhsa_float_denorm_mode_16_64 3
		.amdhsa_dx10_clamp 1
		.amdhsa_ieee_mode 1
		.amdhsa_fp16_overflow 0
		.amdhsa_workgroup_processor_mode 1
		.amdhsa_memory_ordered 1
		.amdhsa_forward_progress 0
		.amdhsa_shared_vgpr_count 0
		.amdhsa_exception_fp_ieee_invalid_op 0
		.amdhsa_exception_fp_denorm_src 0
		.amdhsa_exception_fp_ieee_div_zero 0
		.amdhsa_exception_fp_ieee_overflow 0
		.amdhsa_exception_fp_ieee_underflow 0
		.amdhsa_exception_fp_ieee_inexact 0
		.amdhsa_exception_int_div_zero 0
	.end_amdhsa_kernel
	.section	.text._Z6kernelI6reduceILN6hipcub20BlockReduceAlgorithmE2EEiLj64ELj16ELj100EEvPKT0_PS4_,"axG",@progbits,_Z6kernelI6reduceILN6hipcub20BlockReduceAlgorithmE2EEiLj64ELj16ELj100EEvPKT0_PS4_,comdat
.Lfunc_end146:
	.size	_Z6kernelI6reduceILN6hipcub20BlockReduceAlgorithmE2EEiLj64ELj16ELj100EEvPKT0_PS4_, .Lfunc_end146-_Z6kernelI6reduceILN6hipcub20BlockReduceAlgorithmE2EEiLj64ELj16ELj100EEvPKT0_PS4_
                                        ; -- End function
	.section	.AMDGPU.csdata,"",@progbits
; Kernel info:
; codeLenInByte = 416
; NumSgprs: 18
; NumVgprs: 17
; ScratchSize: 0
; MemoryBound: 0
; FloatMode: 240
; IeeeMode: 1
; LDSByteSize: 256 bytes/workgroup (compile time only)
; SGPRBlocks: 2
; VGPRBlocks: 2
; NumSGPRsForWavesPerEU: 18
; NumVGPRsForWavesPerEU: 17
; Occupancy: 16
; WaveLimiterHint : 0
; COMPUTE_PGM_RSRC2:SCRATCH_EN: 0
; COMPUTE_PGM_RSRC2:USER_SGPR: 15
; COMPUTE_PGM_RSRC2:TRAP_HANDLER: 0
; COMPUTE_PGM_RSRC2:TGID_X_EN: 1
; COMPUTE_PGM_RSRC2:TGID_Y_EN: 0
; COMPUTE_PGM_RSRC2:TGID_Z_EN: 0
; COMPUTE_PGM_RSRC2:TIDIG_COMP_CNT: 0
	.section	.text._Z6kernelI6reduceILN6hipcub20BlockReduceAlgorithmE2EEfLj64ELj1ELj100EEvPKT0_PS4_,"axG",@progbits,_Z6kernelI6reduceILN6hipcub20BlockReduceAlgorithmE2EEfLj64ELj1ELj100EEvPKT0_PS4_,comdat
	.protected	_Z6kernelI6reduceILN6hipcub20BlockReduceAlgorithmE2EEfLj64ELj1ELj100EEvPKT0_PS4_ ; -- Begin function _Z6kernelI6reduceILN6hipcub20BlockReduceAlgorithmE2EEfLj64ELj1ELj100EEvPKT0_PS4_
	.globl	_Z6kernelI6reduceILN6hipcub20BlockReduceAlgorithmE2EEfLj64ELj1ELj100EEvPKT0_PS4_
	.p2align	8
	.type	_Z6kernelI6reduceILN6hipcub20BlockReduceAlgorithmE2EEfLj64ELj1ELj100EEvPKT0_PS4_,@function
_Z6kernelI6reduceILN6hipcub20BlockReduceAlgorithmE2EEfLj64ELj1ELj100EEvPKT0_PS4_: ; @_Z6kernelI6reduceILN6hipcub20BlockReduceAlgorithmE2EEfLj64ELj1ELj100EEvPKT0_PS4_
; %bb.0:
	s_clause 0x1
	s_load_b32 s5, s[0:1], 0x1c
	s_load_b128 s[0:3], s[0:1], 0x0
	s_mov_b32 s4, s15
	v_mov_b32_e32 v3, 0x7c
	s_waitcnt lgkmcnt(0)
	s_and_b32 s5, s5, 0xffff
	s_delay_alu instid0(SALU_CYCLE_1) | instskip(SKIP_1) | instid1(VALU_DEP_1)
	v_mad_u64_u32 v[1:2], null, s4, s5, v[0:1]
	v_mov_b32_e32 v2, 0
	v_lshlrev_b64 v[1:2], 2, v[1:2]
	s_delay_alu instid0(VALU_DEP_1) | instskip(NEXT) | instid1(VALU_DEP_2)
	v_add_co_u32 v1, vcc_lo, s0, v1
	v_add_co_ci_u32_e32 v2, vcc_lo, s1, v2, vcc_lo
	s_movk_i32 s0, 0x64
	global_load_b32 v1, v[1:2], off
	v_lshlrev_b32_e32 v2, 2, v0
	.p2align	6
.LBB147_1:                              ; =>This Inner Loop Header: Depth=1
	s_waitcnt vmcnt(0) lgkmcnt(0)
	s_barrier
	buffer_gl0_inv
	ds_load_b32 v4, v2 offset:128
	s_add_i32 s0, s0, -1
	s_delay_alu instid0(SALU_CYCLE_1) | instskip(SKIP_2) | instid1(VALU_DEP_1)
	s_cmp_eq_u32 s0, 0
	s_waitcnt lgkmcnt(0)
	v_add_f32_e32 v1, v1, v4
	v_mov_b32_dpp v4, v1 quad_perm:[1,0,3,2] row_mask:0xf bank_mask:0xf
	s_delay_alu instid0(VALU_DEP_1) | instskip(NEXT) | instid1(VALU_DEP_1)
	v_add_f32_e32 v1, v1, v4
	v_mov_b32_dpp v4, v1 quad_perm:[2,3,0,1] row_mask:0xf bank_mask:0xf
	s_delay_alu instid0(VALU_DEP_1) | instskip(NEXT) | instid1(VALU_DEP_1)
	v_add_f32_e32 v1, v1, v4
	v_mov_b32_dpp v4, v1 row_ror:4 row_mask:0xf bank_mask:0xf
	s_delay_alu instid0(VALU_DEP_1) | instskip(NEXT) | instid1(VALU_DEP_1)
	v_add_f32_e32 v1, v1, v4
	v_mov_b32_dpp v4, v1 row_ror:8 row_mask:0xf bank_mask:0xf
	s_delay_alu instid0(VALU_DEP_1)
	v_add_f32_e32 v1, v1, v4
	ds_swizzle_b32 v4, v1 offset:swizzle(BROADCAST,32,15)
	s_waitcnt lgkmcnt(0)
	v_add_f32_e32 v1, v1, v4
	ds_bpermute_b32 v1, v3, v1
	s_cbranch_scc0 .LBB147_1
; %bb.2:
	s_mov_b32 s5, 0
	s_mov_b32 s0, exec_lo
	v_cmpx_eq_u32_e32 0, v0
	s_cbranch_execz .LBB147_4
; %bb.3:
	s_lshl_b64 s[0:1], s[4:5], 2
	v_mov_b32_e32 v0, 0
	s_add_u32 s0, s2, s0
	s_addc_u32 s1, s3, s1
	s_waitcnt lgkmcnt(0)
	global_store_b32 v0, v1, s[0:1]
.LBB147_4:
	s_nop 0
	s_sendmsg sendmsg(MSG_DEALLOC_VGPRS)
	s_endpgm
	.section	.rodata,"a",@progbits
	.p2align	6, 0x0
	.amdhsa_kernel _Z6kernelI6reduceILN6hipcub20BlockReduceAlgorithmE2EEfLj64ELj1ELj100EEvPKT0_PS4_
		.amdhsa_group_segment_fixed_size 256
		.amdhsa_private_segment_fixed_size 0
		.amdhsa_kernarg_size 272
		.amdhsa_user_sgpr_count 15
		.amdhsa_user_sgpr_dispatch_ptr 0
		.amdhsa_user_sgpr_queue_ptr 0
		.amdhsa_user_sgpr_kernarg_segment_ptr 1
		.amdhsa_user_sgpr_dispatch_id 0
		.amdhsa_user_sgpr_private_segment_size 0
		.amdhsa_wavefront_size32 1
		.amdhsa_uses_dynamic_stack 0
		.amdhsa_enable_private_segment 0
		.amdhsa_system_sgpr_workgroup_id_x 1
		.amdhsa_system_sgpr_workgroup_id_y 0
		.amdhsa_system_sgpr_workgroup_id_z 0
		.amdhsa_system_sgpr_workgroup_info 0
		.amdhsa_system_vgpr_workitem_id 0
		.amdhsa_next_free_vgpr 5
		.amdhsa_next_free_sgpr 16
		.amdhsa_reserve_vcc 1
		.amdhsa_float_round_mode_32 0
		.amdhsa_float_round_mode_16_64 0
		.amdhsa_float_denorm_mode_32 3
		.amdhsa_float_denorm_mode_16_64 3
		.amdhsa_dx10_clamp 1
		.amdhsa_ieee_mode 1
		.amdhsa_fp16_overflow 0
		.amdhsa_workgroup_processor_mode 1
		.amdhsa_memory_ordered 1
		.amdhsa_forward_progress 0
		.amdhsa_shared_vgpr_count 0
		.amdhsa_exception_fp_ieee_invalid_op 0
		.amdhsa_exception_fp_denorm_src 0
		.amdhsa_exception_fp_ieee_div_zero 0
		.amdhsa_exception_fp_ieee_overflow 0
		.amdhsa_exception_fp_ieee_underflow 0
		.amdhsa_exception_fp_ieee_inexact 0
		.amdhsa_exception_int_div_zero 0
	.end_amdhsa_kernel
	.section	.text._Z6kernelI6reduceILN6hipcub20BlockReduceAlgorithmE2EEfLj64ELj1ELj100EEvPKT0_PS4_,"axG",@progbits,_Z6kernelI6reduceILN6hipcub20BlockReduceAlgorithmE2EEfLj64ELj1ELj100EEvPKT0_PS4_,comdat
.Lfunc_end147:
	.size	_Z6kernelI6reduceILN6hipcub20BlockReduceAlgorithmE2EEfLj64ELj1ELj100EEvPKT0_PS4_, .Lfunc_end147-_Z6kernelI6reduceILN6hipcub20BlockReduceAlgorithmE2EEfLj64ELj1ELj100EEvPKT0_PS4_
                                        ; -- End function
	.section	.AMDGPU.csdata,"",@progbits
; Kernel info:
; codeLenInByte = 292
; NumSgprs: 18
; NumVgprs: 5
; ScratchSize: 0
; MemoryBound: 0
; FloatMode: 240
; IeeeMode: 1
; LDSByteSize: 256 bytes/workgroup (compile time only)
; SGPRBlocks: 2
; VGPRBlocks: 0
; NumSGPRsForWavesPerEU: 18
; NumVGPRsForWavesPerEU: 5
; Occupancy: 16
; WaveLimiterHint : 0
; COMPUTE_PGM_RSRC2:SCRATCH_EN: 0
; COMPUTE_PGM_RSRC2:USER_SGPR: 15
; COMPUTE_PGM_RSRC2:TRAP_HANDLER: 0
; COMPUTE_PGM_RSRC2:TGID_X_EN: 1
; COMPUTE_PGM_RSRC2:TGID_Y_EN: 0
; COMPUTE_PGM_RSRC2:TGID_Z_EN: 0
; COMPUTE_PGM_RSRC2:TIDIG_COMP_CNT: 0
	.section	.text._Z6kernelI6reduceILN6hipcub20BlockReduceAlgorithmE2EEfLj64ELj2ELj100EEvPKT0_PS4_,"axG",@progbits,_Z6kernelI6reduceILN6hipcub20BlockReduceAlgorithmE2EEfLj64ELj2ELj100EEvPKT0_PS4_,comdat
	.protected	_Z6kernelI6reduceILN6hipcub20BlockReduceAlgorithmE2EEfLj64ELj2ELj100EEvPKT0_PS4_ ; -- Begin function _Z6kernelI6reduceILN6hipcub20BlockReduceAlgorithmE2EEfLj64ELj2ELj100EEvPKT0_PS4_
	.globl	_Z6kernelI6reduceILN6hipcub20BlockReduceAlgorithmE2EEfLj64ELj2ELj100EEvPKT0_PS4_
	.p2align	8
	.type	_Z6kernelI6reduceILN6hipcub20BlockReduceAlgorithmE2EEfLj64ELj2ELj100EEvPKT0_PS4_,@function
_Z6kernelI6reduceILN6hipcub20BlockReduceAlgorithmE2EEfLj64ELj2ELj100EEvPKT0_PS4_: ; @_Z6kernelI6reduceILN6hipcub20BlockReduceAlgorithmE2EEfLj64ELj2ELj100EEvPKT0_PS4_
; %bb.0:
	s_clause 0x1
	s_load_b32 s5, s[0:1], 0x1c
	s_load_b128 s[0:3], s[0:1], 0x0
	v_dual_mov_b32 v2, 0 :: v_dual_lshlrev_b32 v3, 2, v0
	v_mov_b32_e32 v4, 0x7c
	s_mov_b32 s4, s15
	s_waitcnt lgkmcnt(0)
	s_and_b32 s5, s5, 0xffff
	s_delay_alu instid0(SALU_CYCLE_1) | instskip(NEXT) | instid1(SALU_CYCLE_1)
	s_mul_i32 s5, s15, s5
	v_add_lshl_u32 v1, s5, v0, 1
	s_delay_alu instid0(VALU_DEP_1) | instskip(NEXT) | instid1(VALU_DEP_1)
	v_lshlrev_b64 v[1:2], 2, v[1:2]
	v_add_co_u32 v1, vcc_lo, s0, v1
	s_delay_alu instid0(VALU_DEP_2)
	v_add_co_ci_u32_e32 v2, vcc_lo, s1, v2, vcc_lo
	s_movk_i32 s0, 0x64
	global_load_b64 v[1:2], v[1:2], off
	.p2align	6
.LBB148_1:                              ; =>This Inner Loop Header: Depth=1
	s_waitcnt vmcnt(0) lgkmcnt(0)
	s_barrier
	buffer_gl0_inv
	ds_load_b32 v5, v3 offset:128
	v_add_f32_e32 v1, v1, v2
	s_add_i32 s0, s0, -1
	s_delay_alu instid0(SALU_CYCLE_1) | instskip(SKIP_1) | instid1(VALU_DEP_1)
	s_cmp_eq_u32 s0, 0
	s_waitcnt lgkmcnt(0)
	v_add_f32_e32 v1, v1, v5
	s_delay_alu instid0(VALU_DEP_1) | instskip(NEXT) | instid1(VALU_DEP_1)
	v_mov_b32_dpp v5, v1 quad_perm:[1,0,3,2] row_mask:0xf bank_mask:0xf
	v_add_f32_e32 v1, v1, v5
	s_delay_alu instid0(VALU_DEP_1) | instskip(NEXT) | instid1(VALU_DEP_1)
	v_mov_b32_dpp v5, v1 quad_perm:[2,3,0,1] row_mask:0xf bank_mask:0xf
	v_add_f32_e32 v1, v1, v5
	s_delay_alu instid0(VALU_DEP_1) | instskip(NEXT) | instid1(VALU_DEP_1)
	v_mov_b32_dpp v5, v1 row_ror:4 row_mask:0xf bank_mask:0xf
	v_add_f32_e32 v1, v1, v5
	s_delay_alu instid0(VALU_DEP_1) | instskip(NEXT) | instid1(VALU_DEP_1)
	v_mov_b32_dpp v5, v1 row_ror:8 row_mask:0xf bank_mask:0xf
	v_add_f32_e32 v1, v1, v5
	ds_swizzle_b32 v5, v1 offset:swizzle(BROADCAST,32,15)
	s_waitcnt lgkmcnt(0)
	v_add_f32_e32 v1, v1, v5
	ds_bpermute_b32 v1, v4, v1
	s_cbranch_scc0 .LBB148_1
; %bb.2:
	s_mov_b32 s5, 0
	s_mov_b32 s0, exec_lo
	v_cmpx_eq_u32_e32 0, v0
	s_cbranch_execz .LBB148_4
; %bb.3:
	s_lshl_b64 s[0:1], s[4:5], 2
	v_mov_b32_e32 v0, 0
	s_add_u32 s0, s2, s0
	s_addc_u32 s1, s3, s1
	s_waitcnt lgkmcnt(0)
	global_store_b32 v0, v1, s[0:1]
.LBB148_4:
	s_nop 0
	s_sendmsg sendmsg(MSG_DEALLOC_VGPRS)
	s_endpgm
	.section	.rodata,"a",@progbits
	.p2align	6, 0x0
	.amdhsa_kernel _Z6kernelI6reduceILN6hipcub20BlockReduceAlgorithmE2EEfLj64ELj2ELj100EEvPKT0_PS4_
		.amdhsa_group_segment_fixed_size 256
		.amdhsa_private_segment_fixed_size 0
		.amdhsa_kernarg_size 272
		.amdhsa_user_sgpr_count 15
		.amdhsa_user_sgpr_dispatch_ptr 0
		.amdhsa_user_sgpr_queue_ptr 0
		.amdhsa_user_sgpr_kernarg_segment_ptr 1
		.amdhsa_user_sgpr_dispatch_id 0
		.amdhsa_user_sgpr_private_segment_size 0
		.amdhsa_wavefront_size32 1
		.amdhsa_uses_dynamic_stack 0
		.amdhsa_enable_private_segment 0
		.amdhsa_system_sgpr_workgroup_id_x 1
		.amdhsa_system_sgpr_workgroup_id_y 0
		.amdhsa_system_sgpr_workgroup_id_z 0
		.amdhsa_system_sgpr_workgroup_info 0
		.amdhsa_system_vgpr_workitem_id 0
		.amdhsa_next_free_vgpr 6
		.amdhsa_next_free_sgpr 16
		.amdhsa_reserve_vcc 1
		.amdhsa_float_round_mode_32 0
		.amdhsa_float_round_mode_16_64 0
		.amdhsa_float_denorm_mode_32 3
		.amdhsa_float_denorm_mode_16_64 3
		.amdhsa_dx10_clamp 1
		.amdhsa_ieee_mode 1
		.amdhsa_fp16_overflow 0
		.amdhsa_workgroup_processor_mode 1
		.amdhsa_memory_ordered 1
		.amdhsa_forward_progress 0
		.amdhsa_shared_vgpr_count 0
		.amdhsa_exception_fp_ieee_invalid_op 0
		.amdhsa_exception_fp_denorm_src 0
		.amdhsa_exception_fp_ieee_div_zero 0
		.amdhsa_exception_fp_ieee_overflow 0
		.amdhsa_exception_fp_ieee_underflow 0
		.amdhsa_exception_fp_ieee_inexact 0
		.amdhsa_exception_int_div_zero 0
	.end_amdhsa_kernel
	.section	.text._Z6kernelI6reduceILN6hipcub20BlockReduceAlgorithmE2EEfLj64ELj2ELj100EEvPKT0_PS4_,"axG",@progbits,_Z6kernelI6reduceILN6hipcub20BlockReduceAlgorithmE2EEfLj64ELj2ELj100EEvPKT0_PS4_,comdat
.Lfunc_end148:
	.size	_Z6kernelI6reduceILN6hipcub20BlockReduceAlgorithmE2EEfLj64ELj2ELj100EEvPKT0_PS4_, .Lfunc_end148-_Z6kernelI6reduceILN6hipcub20BlockReduceAlgorithmE2EEfLj64ELj2ELj100EEvPKT0_PS4_
                                        ; -- End function
	.section	.AMDGPU.csdata,"",@progbits
; Kernel info:
; codeLenInByte = 304
; NumSgprs: 18
; NumVgprs: 6
; ScratchSize: 0
; MemoryBound: 0
; FloatMode: 240
; IeeeMode: 1
; LDSByteSize: 256 bytes/workgroup (compile time only)
; SGPRBlocks: 2
; VGPRBlocks: 0
; NumSGPRsForWavesPerEU: 18
; NumVGPRsForWavesPerEU: 6
; Occupancy: 16
; WaveLimiterHint : 0
; COMPUTE_PGM_RSRC2:SCRATCH_EN: 0
; COMPUTE_PGM_RSRC2:USER_SGPR: 15
; COMPUTE_PGM_RSRC2:TRAP_HANDLER: 0
; COMPUTE_PGM_RSRC2:TGID_X_EN: 1
; COMPUTE_PGM_RSRC2:TGID_Y_EN: 0
; COMPUTE_PGM_RSRC2:TGID_Z_EN: 0
; COMPUTE_PGM_RSRC2:TIDIG_COMP_CNT: 0
	.section	.text._Z6kernelI6reduceILN6hipcub20BlockReduceAlgorithmE2EEfLj64ELj3ELj100EEvPKT0_PS4_,"axG",@progbits,_Z6kernelI6reduceILN6hipcub20BlockReduceAlgorithmE2EEfLj64ELj3ELj100EEvPKT0_PS4_,comdat
	.protected	_Z6kernelI6reduceILN6hipcub20BlockReduceAlgorithmE2EEfLj64ELj3ELj100EEvPKT0_PS4_ ; -- Begin function _Z6kernelI6reduceILN6hipcub20BlockReduceAlgorithmE2EEfLj64ELj3ELj100EEvPKT0_PS4_
	.globl	_Z6kernelI6reduceILN6hipcub20BlockReduceAlgorithmE2EEfLj64ELj3ELj100EEvPKT0_PS4_
	.p2align	8
	.type	_Z6kernelI6reduceILN6hipcub20BlockReduceAlgorithmE2EEfLj64ELj3ELj100EEvPKT0_PS4_,@function
_Z6kernelI6reduceILN6hipcub20BlockReduceAlgorithmE2EEfLj64ELj3ELj100EEvPKT0_PS4_: ; @_Z6kernelI6reduceILN6hipcub20BlockReduceAlgorithmE2EEfLj64ELj3ELj100EEvPKT0_PS4_
; %bb.0:
	s_load_b32 s2, s[0:1], 0x1c
	s_mov_b32 s4, s15
	s_waitcnt lgkmcnt(0)
	s_and_b32 s2, s2, 0xffff
	s_delay_alu instid0(SALU_CYCLE_1) | instskip(SKIP_1) | instid1(VALU_DEP_1)
	v_mad_u64_u32 v[1:2], null, s4, s2, v[0:1]
	s_load_b128 s[0:3], s[0:1], 0x0
	v_lshl_add_u32 v1, v1, 1, v1
	s_delay_alu instid0(VALU_DEP_1) | instskip(NEXT) | instid1(VALU_DEP_1)
	v_dual_mov_b32 v2, 0 :: v_dual_add_nc_u32 v3, 1, v1
	v_mov_b32_e32 v4, v2
	v_lshlrev_b64 v[5:6], 2, v[1:2]
	v_add_nc_u32_e32 v1, 2, v1
	s_delay_alu instid0(VALU_DEP_3) | instskip(NEXT) | instid1(VALU_DEP_2)
	v_lshlrev_b64 v[3:4], 2, v[3:4]
	v_lshlrev_b64 v[1:2], 2, v[1:2]
	s_waitcnt lgkmcnt(0)
	s_delay_alu instid0(VALU_DEP_4) | instskip(SKIP_1) | instid1(VALU_DEP_4)
	v_add_co_u32 v5, vcc_lo, s0, v5
	v_add_co_ci_u32_e32 v6, vcc_lo, s1, v6, vcc_lo
	v_add_co_u32 v3, vcc_lo, s0, v3
	v_add_co_ci_u32_e32 v4, vcc_lo, s1, v4, vcc_lo
	;; [unrolled: 2-line block ×3, first 2 shown]
	s_clause 0x2
	global_load_b32 v1, v[5:6], off
	global_load_b32 v2, v[3:4], off
	;; [unrolled: 1-line block ×3, first 2 shown]
	v_dual_mov_b32 v5, 0x7c :: v_dual_lshlrev_b32 v4, 2, v0
	s_movk_i32 s0, 0x64
	.p2align	6
.LBB149_1:                              ; =>This Inner Loop Header: Depth=1
	s_waitcnt vmcnt(0) lgkmcnt(0)
	s_barrier
	buffer_gl0_inv
	ds_load_b32 v6, v4 offset:128
	v_add_f32_e32 v1, v1, v2
	s_add_i32 s0, s0, -1
	s_delay_alu instid0(SALU_CYCLE_1) | instskip(NEXT) | instid1(VALU_DEP_1)
	s_cmp_eq_u32 s0, 0
	v_add_f32_e32 v1, v3, v1
	s_waitcnt lgkmcnt(0)
	s_delay_alu instid0(VALU_DEP_1) | instskip(NEXT) | instid1(VALU_DEP_1)
	v_add_f32_e32 v1, v1, v6
	v_mov_b32_dpp v6, v1 quad_perm:[1,0,3,2] row_mask:0xf bank_mask:0xf
	s_delay_alu instid0(VALU_DEP_1) | instskip(NEXT) | instid1(VALU_DEP_1)
	v_add_f32_e32 v1, v1, v6
	v_mov_b32_dpp v6, v1 quad_perm:[2,3,0,1] row_mask:0xf bank_mask:0xf
	s_delay_alu instid0(VALU_DEP_1) | instskip(NEXT) | instid1(VALU_DEP_1)
	v_add_f32_e32 v1, v1, v6
	v_mov_b32_dpp v6, v1 row_ror:4 row_mask:0xf bank_mask:0xf
	s_delay_alu instid0(VALU_DEP_1) | instskip(NEXT) | instid1(VALU_DEP_1)
	v_add_f32_e32 v1, v1, v6
	v_mov_b32_dpp v6, v1 row_ror:8 row_mask:0xf bank_mask:0xf
	s_delay_alu instid0(VALU_DEP_1)
	v_add_f32_e32 v1, v1, v6
	ds_swizzle_b32 v6, v1 offset:swizzle(BROADCAST,32,15)
	s_waitcnt lgkmcnt(0)
	v_add_f32_e32 v1, v1, v6
	ds_bpermute_b32 v1, v5, v1
	s_cbranch_scc0 .LBB149_1
; %bb.2:
	s_mov_b32 s5, 0
	s_mov_b32 s0, exec_lo
	v_cmpx_eq_u32_e32 0, v0
	s_cbranch_execz .LBB149_4
; %bb.3:
	s_lshl_b64 s[0:1], s[4:5], 2
	v_mov_b32_e32 v0, 0
	s_add_u32 s0, s2, s0
	s_addc_u32 s1, s3, s1
	s_waitcnt lgkmcnt(0)
	global_store_b32 v0, v1, s[0:1]
.LBB149_4:
	s_nop 0
	s_sendmsg sendmsg(MSG_DEALLOC_VGPRS)
	s_endpgm
	.section	.rodata,"a",@progbits
	.p2align	6, 0x0
	.amdhsa_kernel _Z6kernelI6reduceILN6hipcub20BlockReduceAlgorithmE2EEfLj64ELj3ELj100EEvPKT0_PS4_
		.amdhsa_group_segment_fixed_size 256
		.amdhsa_private_segment_fixed_size 0
		.amdhsa_kernarg_size 272
		.amdhsa_user_sgpr_count 15
		.amdhsa_user_sgpr_dispatch_ptr 0
		.amdhsa_user_sgpr_queue_ptr 0
		.amdhsa_user_sgpr_kernarg_segment_ptr 1
		.amdhsa_user_sgpr_dispatch_id 0
		.amdhsa_user_sgpr_private_segment_size 0
		.amdhsa_wavefront_size32 1
		.amdhsa_uses_dynamic_stack 0
		.amdhsa_enable_private_segment 0
		.amdhsa_system_sgpr_workgroup_id_x 1
		.amdhsa_system_sgpr_workgroup_id_y 0
		.amdhsa_system_sgpr_workgroup_id_z 0
		.amdhsa_system_sgpr_workgroup_info 0
		.amdhsa_system_vgpr_workitem_id 0
		.amdhsa_next_free_vgpr 9
		.amdhsa_next_free_sgpr 16
		.amdhsa_reserve_vcc 1
		.amdhsa_float_round_mode_32 0
		.amdhsa_float_round_mode_16_64 0
		.amdhsa_float_denorm_mode_32 3
		.amdhsa_float_denorm_mode_16_64 3
		.amdhsa_dx10_clamp 1
		.amdhsa_ieee_mode 1
		.amdhsa_fp16_overflow 0
		.amdhsa_workgroup_processor_mode 1
		.amdhsa_memory_ordered 1
		.amdhsa_forward_progress 0
		.amdhsa_shared_vgpr_count 0
		.amdhsa_exception_fp_ieee_invalid_op 0
		.amdhsa_exception_fp_denorm_src 0
		.amdhsa_exception_fp_ieee_div_zero 0
		.amdhsa_exception_fp_ieee_overflow 0
		.amdhsa_exception_fp_ieee_underflow 0
		.amdhsa_exception_fp_ieee_inexact 0
		.amdhsa_exception_int_div_zero 0
	.end_amdhsa_kernel
	.section	.text._Z6kernelI6reduceILN6hipcub20BlockReduceAlgorithmE2EEfLj64ELj3ELj100EEvPKT0_PS4_,"axG",@progbits,_Z6kernelI6reduceILN6hipcub20BlockReduceAlgorithmE2EEfLj64ELj3ELj100EEvPKT0_PS4_,comdat
.Lfunc_end149:
	.size	_Z6kernelI6reduceILN6hipcub20BlockReduceAlgorithmE2EEfLj64ELj3ELj100EEvPKT0_PS4_, .Lfunc_end149-_Z6kernelI6reduceILN6hipcub20BlockReduceAlgorithmE2EEfLj64ELj3ELj100EEvPKT0_PS4_
                                        ; -- End function
	.section	.AMDGPU.csdata,"",@progbits
; Kernel info:
; codeLenInByte = 392
; NumSgprs: 18
; NumVgprs: 9
; ScratchSize: 0
; MemoryBound: 0
; FloatMode: 240
; IeeeMode: 1
; LDSByteSize: 256 bytes/workgroup (compile time only)
; SGPRBlocks: 2
; VGPRBlocks: 1
; NumSGPRsForWavesPerEU: 18
; NumVGPRsForWavesPerEU: 9
; Occupancy: 16
; WaveLimiterHint : 0
; COMPUTE_PGM_RSRC2:SCRATCH_EN: 0
; COMPUTE_PGM_RSRC2:USER_SGPR: 15
; COMPUTE_PGM_RSRC2:TRAP_HANDLER: 0
; COMPUTE_PGM_RSRC2:TGID_X_EN: 1
; COMPUTE_PGM_RSRC2:TGID_Y_EN: 0
; COMPUTE_PGM_RSRC2:TGID_Z_EN: 0
; COMPUTE_PGM_RSRC2:TIDIG_COMP_CNT: 0
	.section	.text._Z6kernelI6reduceILN6hipcub20BlockReduceAlgorithmE2EEfLj64ELj4ELj100EEvPKT0_PS4_,"axG",@progbits,_Z6kernelI6reduceILN6hipcub20BlockReduceAlgorithmE2EEfLj64ELj4ELj100EEvPKT0_PS4_,comdat
	.protected	_Z6kernelI6reduceILN6hipcub20BlockReduceAlgorithmE2EEfLj64ELj4ELj100EEvPKT0_PS4_ ; -- Begin function _Z6kernelI6reduceILN6hipcub20BlockReduceAlgorithmE2EEfLj64ELj4ELj100EEvPKT0_PS4_
	.globl	_Z6kernelI6reduceILN6hipcub20BlockReduceAlgorithmE2EEfLj64ELj4ELj100EEvPKT0_PS4_
	.p2align	8
	.type	_Z6kernelI6reduceILN6hipcub20BlockReduceAlgorithmE2EEfLj64ELj4ELj100EEvPKT0_PS4_,@function
_Z6kernelI6reduceILN6hipcub20BlockReduceAlgorithmE2EEfLj64ELj4ELj100EEvPKT0_PS4_: ; @_Z6kernelI6reduceILN6hipcub20BlockReduceAlgorithmE2EEfLj64ELj4ELj100EEvPKT0_PS4_
; %bb.0:
	s_clause 0x1
	s_load_b32 s5, s[0:1], 0x1c
	s_load_b128 s[0:3], s[0:1], 0x0
	v_dual_mov_b32 v2, 0 :: v_dual_lshlrev_b32 v5, 2, v0
	v_mov_b32_e32 v6, 0x7c
	s_mov_b32 s4, s15
	s_waitcnt lgkmcnt(0)
	s_and_b32 s5, s5, 0xffff
	s_delay_alu instid0(SALU_CYCLE_1) | instskip(NEXT) | instid1(SALU_CYCLE_1)
	s_mul_i32 s5, s15, s5
	v_add_lshl_u32 v1, s5, v0, 2
	s_delay_alu instid0(VALU_DEP_1) | instskip(NEXT) | instid1(VALU_DEP_1)
	v_lshlrev_b64 v[1:2], 2, v[1:2]
	v_add_co_u32 v1, vcc_lo, s0, v1
	s_delay_alu instid0(VALU_DEP_2)
	v_add_co_ci_u32_e32 v2, vcc_lo, s1, v2, vcc_lo
	s_movk_i32 s0, 0x64
	global_load_b128 v[1:4], v[1:2], off
	.p2align	6
.LBB150_1:                              ; =>This Inner Loop Header: Depth=1
	s_waitcnt vmcnt(0) lgkmcnt(0)
	s_barrier
	buffer_gl0_inv
	ds_load_b32 v7, v5 offset:128
	v_add_f32_e32 v1, v1, v2
	s_add_i32 s0, s0, -1
	s_delay_alu instid0(SALU_CYCLE_1) | instskip(NEXT) | instid1(VALU_DEP_1)
	s_cmp_eq_u32 s0, 0
	v_add_f32_e32 v1, v3, v1
	s_delay_alu instid0(VALU_DEP_1) | instskip(SKIP_1) | instid1(VALU_DEP_1)
	v_add_f32_e32 v1, v4, v1
	s_waitcnt lgkmcnt(0)
	v_add_f32_e32 v1, v1, v7
	s_delay_alu instid0(VALU_DEP_1) | instskip(NEXT) | instid1(VALU_DEP_1)
	v_mov_b32_dpp v7, v1 quad_perm:[1,0,3,2] row_mask:0xf bank_mask:0xf
	v_add_f32_e32 v1, v1, v7
	s_delay_alu instid0(VALU_DEP_1) | instskip(NEXT) | instid1(VALU_DEP_1)
	v_mov_b32_dpp v7, v1 quad_perm:[2,3,0,1] row_mask:0xf bank_mask:0xf
	v_add_f32_e32 v1, v1, v7
	s_delay_alu instid0(VALU_DEP_1) | instskip(NEXT) | instid1(VALU_DEP_1)
	v_mov_b32_dpp v7, v1 row_ror:4 row_mask:0xf bank_mask:0xf
	v_add_f32_e32 v1, v1, v7
	s_delay_alu instid0(VALU_DEP_1) | instskip(NEXT) | instid1(VALU_DEP_1)
	v_mov_b32_dpp v7, v1 row_ror:8 row_mask:0xf bank_mask:0xf
	v_add_f32_e32 v1, v1, v7
	ds_swizzle_b32 v7, v1 offset:swizzle(BROADCAST,32,15)
	s_waitcnt lgkmcnt(0)
	v_add_f32_e32 v1, v1, v7
	ds_bpermute_b32 v1, v6, v1
	s_cbranch_scc0 .LBB150_1
; %bb.2:
	s_mov_b32 s5, 0
	s_mov_b32 s0, exec_lo
	v_cmpx_eq_u32_e32 0, v0
	s_cbranch_execz .LBB150_4
; %bb.3:
	s_lshl_b64 s[0:1], s[4:5], 2
	v_mov_b32_e32 v0, 0
	s_add_u32 s0, s2, s0
	s_addc_u32 s1, s3, s1
	s_waitcnt lgkmcnt(0)
	global_store_b32 v0, v1, s[0:1]
.LBB150_4:
	s_nop 0
	s_sendmsg sendmsg(MSG_DEALLOC_VGPRS)
	s_endpgm
	.section	.rodata,"a",@progbits
	.p2align	6, 0x0
	.amdhsa_kernel _Z6kernelI6reduceILN6hipcub20BlockReduceAlgorithmE2EEfLj64ELj4ELj100EEvPKT0_PS4_
		.amdhsa_group_segment_fixed_size 256
		.amdhsa_private_segment_fixed_size 0
		.amdhsa_kernarg_size 272
		.amdhsa_user_sgpr_count 15
		.amdhsa_user_sgpr_dispatch_ptr 0
		.amdhsa_user_sgpr_queue_ptr 0
		.amdhsa_user_sgpr_kernarg_segment_ptr 1
		.amdhsa_user_sgpr_dispatch_id 0
		.amdhsa_user_sgpr_private_segment_size 0
		.amdhsa_wavefront_size32 1
		.amdhsa_uses_dynamic_stack 0
		.amdhsa_enable_private_segment 0
		.amdhsa_system_sgpr_workgroup_id_x 1
		.amdhsa_system_sgpr_workgroup_id_y 0
		.amdhsa_system_sgpr_workgroup_id_z 0
		.amdhsa_system_sgpr_workgroup_info 0
		.amdhsa_system_vgpr_workitem_id 0
		.amdhsa_next_free_vgpr 8
		.amdhsa_next_free_sgpr 16
		.amdhsa_reserve_vcc 1
		.amdhsa_float_round_mode_32 0
		.amdhsa_float_round_mode_16_64 0
		.amdhsa_float_denorm_mode_32 3
		.amdhsa_float_denorm_mode_16_64 3
		.amdhsa_dx10_clamp 1
		.amdhsa_ieee_mode 1
		.amdhsa_fp16_overflow 0
		.amdhsa_workgroup_processor_mode 1
		.amdhsa_memory_ordered 1
		.amdhsa_forward_progress 0
		.amdhsa_shared_vgpr_count 0
		.amdhsa_exception_fp_ieee_invalid_op 0
		.amdhsa_exception_fp_denorm_src 0
		.amdhsa_exception_fp_ieee_div_zero 0
		.amdhsa_exception_fp_ieee_overflow 0
		.amdhsa_exception_fp_ieee_underflow 0
		.amdhsa_exception_fp_ieee_inexact 0
		.amdhsa_exception_int_div_zero 0
	.end_amdhsa_kernel
	.section	.text._Z6kernelI6reduceILN6hipcub20BlockReduceAlgorithmE2EEfLj64ELj4ELj100EEvPKT0_PS4_,"axG",@progbits,_Z6kernelI6reduceILN6hipcub20BlockReduceAlgorithmE2EEfLj64ELj4ELj100EEvPKT0_PS4_,comdat
.Lfunc_end150:
	.size	_Z6kernelI6reduceILN6hipcub20BlockReduceAlgorithmE2EEfLj64ELj4ELj100EEvPKT0_PS4_, .Lfunc_end150-_Z6kernelI6reduceILN6hipcub20BlockReduceAlgorithmE2EEfLj64ELj4ELj100EEvPKT0_PS4_
                                        ; -- End function
	.section	.AMDGPU.csdata,"",@progbits
; Kernel info:
; codeLenInByte = 316
; NumSgprs: 18
; NumVgprs: 8
; ScratchSize: 0
; MemoryBound: 0
; FloatMode: 240
; IeeeMode: 1
; LDSByteSize: 256 bytes/workgroup (compile time only)
; SGPRBlocks: 2
; VGPRBlocks: 0
; NumSGPRsForWavesPerEU: 18
; NumVGPRsForWavesPerEU: 8
; Occupancy: 16
; WaveLimiterHint : 0
; COMPUTE_PGM_RSRC2:SCRATCH_EN: 0
; COMPUTE_PGM_RSRC2:USER_SGPR: 15
; COMPUTE_PGM_RSRC2:TRAP_HANDLER: 0
; COMPUTE_PGM_RSRC2:TGID_X_EN: 1
; COMPUTE_PGM_RSRC2:TGID_Y_EN: 0
; COMPUTE_PGM_RSRC2:TGID_Z_EN: 0
; COMPUTE_PGM_RSRC2:TIDIG_COMP_CNT: 0
	.section	.text._Z6kernelI6reduceILN6hipcub20BlockReduceAlgorithmE2EEfLj64ELj8ELj100EEvPKT0_PS4_,"axG",@progbits,_Z6kernelI6reduceILN6hipcub20BlockReduceAlgorithmE2EEfLj64ELj8ELj100EEvPKT0_PS4_,comdat
	.protected	_Z6kernelI6reduceILN6hipcub20BlockReduceAlgorithmE2EEfLj64ELj8ELj100EEvPKT0_PS4_ ; -- Begin function _Z6kernelI6reduceILN6hipcub20BlockReduceAlgorithmE2EEfLj64ELj8ELj100EEvPKT0_PS4_
	.globl	_Z6kernelI6reduceILN6hipcub20BlockReduceAlgorithmE2EEfLj64ELj8ELj100EEvPKT0_PS4_
	.p2align	8
	.type	_Z6kernelI6reduceILN6hipcub20BlockReduceAlgorithmE2EEfLj64ELj8ELj100EEvPKT0_PS4_,@function
_Z6kernelI6reduceILN6hipcub20BlockReduceAlgorithmE2EEfLj64ELj8ELj100EEvPKT0_PS4_: ; @_Z6kernelI6reduceILN6hipcub20BlockReduceAlgorithmE2EEfLj64ELj8ELj100EEvPKT0_PS4_
; %bb.0:
	s_clause 0x1
	s_load_b32 s5, s[0:1], 0x1c
	s_load_b128 s[0:3], s[0:1], 0x0
	v_dual_mov_b32 v2, 0 :: v_dual_lshlrev_b32 v9, 2, v0
	v_mov_b32_e32 v10, 0x7c
	s_mov_b32 s4, s15
	s_waitcnt lgkmcnt(0)
	s_and_b32 s5, s5, 0xffff
	s_delay_alu instid0(SALU_CYCLE_1) | instskip(NEXT) | instid1(SALU_CYCLE_1)
	s_mul_i32 s5, s15, s5
	v_add_lshl_u32 v1, s5, v0, 3
	s_delay_alu instid0(VALU_DEP_1) | instskip(NEXT) | instid1(VALU_DEP_1)
	v_lshlrev_b64 v[1:2], 2, v[1:2]
	v_add_co_u32 v5, vcc_lo, s0, v1
	s_delay_alu instid0(VALU_DEP_2)
	v_add_co_ci_u32_e32 v6, vcc_lo, s1, v2, vcc_lo
	s_movk_i32 s0, 0x64
	s_clause 0x1
	global_load_b128 v[1:4], v[5:6], off
	global_load_b128 v[5:8], v[5:6], off offset:16
	.p2align	6
.LBB151_1:                              ; =>This Inner Loop Header: Depth=1
	s_waitcnt vmcnt(1) lgkmcnt(0)
	v_add_f32_e32 v1, v1, v2
	s_waitcnt vmcnt(0)
	s_barrier
	buffer_gl0_inv
	ds_load_b32 v11, v9 offset:128
	v_add_f32_e32 v1, v3, v1
	s_add_i32 s0, s0, -1
	s_delay_alu instid0(SALU_CYCLE_1) | instskip(NEXT) | instid1(VALU_DEP_1)
	s_cmp_eq_u32 s0, 0
	v_add_f32_e32 v1, v4, v1
	s_delay_alu instid0(VALU_DEP_1) | instskip(NEXT) | instid1(VALU_DEP_1)
	v_add_f32_e32 v1, v5, v1
	v_add_f32_e32 v1, v6, v1
	s_delay_alu instid0(VALU_DEP_1) | instskip(NEXT) | instid1(VALU_DEP_1)
	v_add_f32_e32 v1, v7, v1
	v_add_f32_e32 v1, v8, v1
	s_waitcnt lgkmcnt(0)
	s_delay_alu instid0(VALU_DEP_1) | instskip(NEXT) | instid1(VALU_DEP_1)
	v_add_f32_e32 v1, v11, v1
	v_mov_b32_dpp v11, v1 quad_perm:[1,0,3,2] row_mask:0xf bank_mask:0xf
	s_delay_alu instid0(VALU_DEP_1) | instskip(NEXT) | instid1(VALU_DEP_1)
	v_add_f32_e32 v1, v1, v11
	v_mov_b32_dpp v11, v1 quad_perm:[2,3,0,1] row_mask:0xf bank_mask:0xf
	s_delay_alu instid0(VALU_DEP_1) | instskip(NEXT) | instid1(VALU_DEP_1)
	v_add_f32_e32 v1, v1, v11
	v_mov_b32_dpp v11, v1 row_ror:4 row_mask:0xf bank_mask:0xf
	s_delay_alu instid0(VALU_DEP_1) | instskip(NEXT) | instid1(VALU_DEP_1)
	v_add_f32_e32 v1, v1, v11
	v_mov_b32_dpp v11, v1 row_ror:8 row_mask:0xf bank_mask:0xf
	s_delay_alu instid0(VALU_DEP_1)
	v_add_f32_e32 v1, v1, v11
	ds_swizzle_b32 v11, v1 offset:swizzle(BROADCAST,32,15)
	s_waitcnt lgkmcnt(0)
	v_add_f32_e32 v1, v1, v11
	ds_bpermute_b32 v1, v10, v1
	s_cbranch_scc0 .LBB151_1
; %bb.2:
	s_mov_b32 s5, 0
	s_mov_b32 s0, exec_lo
	v_cmpx_eq_u32_e32 0, v0
	s_cbranch_execz .LBB151_4
; %bb.3:
	s_lshl_b64 s[0:1], s[4:5], 2
	v_mov_b32_e32 v0, 0
	s_add_u32 s0, s2, s0
	s_addc_u32 s1, s3, s1
	s_waitcnt lgkmcnt(0)
	global_store_b32 v0, v1, s[0:1]
.LBB151_4:
	s_nop 0
	s_sendmsg sendmsg(MSG_DEALLOC_VGPRS)
	s_endpgm
	.section	.rodata,"a",@progbits
	.p2align	6, 0x0
	.amdhsa_kernel _Z6kernelI6reduceILN6hipcub20BlockReduceAlgorithmE2EEfLj64ELj8ELj100EEvPKT0_PS4_
		.amdhsa_group_segment_fixed_size 256
		.amdhsa_private_segment_fixed_size 0
		.amdhsa_kernarg_size 272
		.amdhsa_user_sgpr_count 15
		.amdhsa_user_sgpr_dispatch_ptr 0
		.amdhsa_user_sgpr_queue_ptr 0
		.amdhsa_user_sgpr_kernarg_segment_ptr 1
		.amdhsa_user_sgpr_dispatch_id 0
		.amdhsa_user_sgpr_private_segment_size 0
		.amdhsa_wavefront_size32 1
		.amdhsa_uses_dynamic_stack 0
		.amdhsa_enable_private_segment 0
		.amdhsa_system_sgpr_workgroup_id_x 1
		.amdhsa_system_sgpr_workgroup_id_y 0
		.amdhsa_system_sgpr_workgroup_id_z 0
		.amdhsa_system_sgpr_workgroup_info 0
		.amdhsa_system_vgpr_workitem_id 0
		.amdhsa_next_free_vgpr 12
		.amdhsa_next_free_sgpr 16
		.amdhsa_reserve_vcc 1
		.amdhsa_float_round_mode_32 0
		.amdhsa_float_round_mode_16_64 0
		.amdhsa_float_denorm_mode_32 3
		.amdhsa_float_denorm_mode_16_64 3
		.amdhsa_dx10_clamp 1
		.amdhsa_ieee_mode 1
		.amdhsa_fp16_overflow 0
		.amdhsa_workgroup_processor_mode 1
		.amdhsa_memory_ordered 1
		.amdhsa_forward_progress 0
		.amdhsa_shared_vgpr_count 0
		.amdhsa_exception_fp_ieee_invalid_op 0
		.amdhsa_exception_fp_denorm_src 0
		.amdhsa_exception_fp_ieee_div_zero 0
		.amdhsa_exception_fp_ieee_overflow 0
		.amdhsa_exception_fp_ieee_underflow 0
		.amdhsa_exception_fp_ieee_inexact 0
		.amdhsa_exception_int_div_zero 0
	.end_amdhsa_kernel
	.section	.text._Z6kernelI6reduceILN6hipcub20BlockReduceAlgorithmE2EEfLj64ELj8ELj100EEvPKT0_PS4_,"axG",@progbits,_Z6kernelI6reduceILN6hipcub20BlockReduceAlgorithmE2EEfLj64ELj8ELj100EEvPKT0_PS4_,comdat
.Lfunc_end151:
	.size	_Z6kernelI6reduceILN6hipcub20BlockReduceAlgorithmE2EEfLj64ELj8ELj100EEvPKT0_PS4_, .Lfunc_end151-_Z6kernelI6reduceILN6hipcub20BlockReduceAlgorithmE2EEfLj64ELj8ELj100EEvPKT0_PS4_
                                        ; -- End function
	.section	.AMDGPU.csdata,"",@progbits
; Kernel info:
; codeLenInByte = 356
; NumSgprs: 18
; NumVgprs: 12
; ScratchSize: 0
; MemoryBound: 0
; FloatMode: 240
; IeeeMode: 1
; LDSByteSize: 256 bytes/workgroup (compile time only)
; SGPRBlocks: 2
; VGPRBlocks: 1
; NumSGPRsForWavesPerEU: 18
; NumVGPRsForWavesPerEU: 12
; Occupancy: 16
; WaveLimiterHint : 0
; COMPUTE_PGM_RSRC2:SCRATCH_EN: 0
; COMPUTE_PGM_RSRC2:USER_SGPR: 15
; COMPUTE_PGM_RSRC2:TRAP_HANDLER: 0
; COMPUTE_PGM_RSRC2:TGID_X_EN: 1
; COMPUTE_PGM_RSRC2:TGID_Y_EN: 0
; COMPUTE_PGM_RSRC2:TGID_Z_EN: 0
; COMPUTE_PGM_RSRC2:TIDIG_COMP_CNT: 0
	.section	.text._Z6kernelI6reduceILN6hipcub20BlockReduceAlgorithmE2EEfLj64ELj11ELj100EEvPKT0_PS4_,"axG",@progbits,_Z6kernelI6reduceILN6hipcub20BlockReduceAlgorithmE2EEfLj64ELj11ELj100EEvPKT0_PS4_,comdat
	.protected	_Z6kernelI6reduceILN6hipcub20BlockReduceAlgorithmE2EEfLj64ELj11ELj100EEvPKT0_PS4_ ; -- Begin function _Z6kernelI6reduceILN6hipcub20BlockReduceAlgorithmE2EEfLj64ELj11ELj100EEvPKT0_PS4_
	.globl	_Z6kernelI6reduceILN6hipcub20BlockReduceAlgorithmE2EEfLj64ELj11ELj100EEvPKT0_PS4_
	.p2align	8
	.type	_Z6kernelI6reduceILN6hipcub20BlockReduceAlgorithmE2EEfLj64ELj11ELj100EEvPKT0_PS4_,@function
_Z6kernelI6reduceILN6hipcub20BlockReduceAlgorithmE2EEfLj64ELj11ELj100EEvPKT0_PS4_: ; @_Z6kernelI6reduceILN6hipcub20BlockReduceAlgorithmE2EEfLj64ELj11ELj100EEvPKT0_PS4_
; %bb.0:
	s_load_b32 s2, s[0:1], 0x1c
	s_mov_b32 s4, s15
	s_waitcnt lgkmcnt(0)
	s_and_b32 s2, s2, 0xffff
	s_delay_alu instid0(SALU_CYCLE_1) | instskip(SKIP_1) | instid1(VALU_DEP_1)
	v_mad_u64_u32 v[1:2], null, s4, s2, v[0:1]
	s_load_b128 s[0:3], s[0:1], 0x0
	v_mul_lo_u32 v1, v1, 11
	s_delay_alu instid0(VALU_DEP_1) | instskip(NEXT) | instid1(VALU_DEP_1)
	v_dual_mov_b32 v2, 0 :: v_dual_add_nc_u32 v3, 1, v1
	v_dual_mov_b32 v4, v2 :: v_dual_add_nc_u32 v5, 2, v1
	v_lshlrev_b64 v[17:18], 2, v[1:2]
	v_dual_mov_b32 v6, v2 :: v_dual_add_nc_u32 v7, 3, v1
	s_delay_alu instid0(VALU_DEP_3) | instskip(SKIP_1) | instid1(VALU_DEP_3)
	v_lshlrev_b64 v[3:4], 2, v[3:4]
	v_dual_mov_b32 v8, v2 :: v_dual_add_nc_u32 v9, 4, v1
	v_lshlrev_b64 v[5:6], 2, v[5:6]
	s_waitcnt lgkmcnt(0)
	v_add_co_u32 v17, vcc_lo, s0, v17
	v_dual_mov_b32 v10, v2 :: v_dual_add_nc_u32 v11, 5, v1
	v_add_co_ci_u32_e32 v18, vcc_lo, s1, v18, vcc_lo
	v_lshlrev_b64 v[7:8], 2, v[7:8]
	v_add_co_u32 v3, vcc_lo, s0, v3
	v_dual_mov_b32 v12, v2 :: v_dual_add_nc_u32 v13, 6, v1
	v_add_co_ci_u32_e32 v4, vcc_lo, s1, v4, vcc_lo
	v_lshlrev_b64 v[9:10], 2, v[9:10]
	v_add_co_u32 v5, vcc_lo, s0, v5
	v_dual_mov_b32 v14, v2 :: v_dual_add_nc_u32 v15, 7, v1
	v_add_co_ci_u32_e32 v6, vcc_lo, s1, v6, vcc_lo
	v_lshlrev_b64 v[11:12], 2, v[11:12]
	v_add_co_u32 v7, vcc_lo, s0, v7
	v_dual_mov_b32 v16, v2 :: v_dual_add_nc_u32 v21, 8, v1
	v_add_co_ci_u32_e32 v8, vcc_lo, s1, v8, vcc_lo
	v_lshlrev_b64 v[13:14], 2, v[13:14]
	v_add_co_u32 v19, vcc_lo, s0, v9
	v_dual_mov_b32 v22, v2 :: v_dual_add_nc_u32 v23, 9, v1
	v_add_co_ci_u32_e32 v20, vcc_lo, s1, v10, vcc_lo
	v_add_co_u32 v10, vcc_lo, s0, v11
	v_lshlrev_b64 v[15:16], 2, v[15:16]
	v_dual_mov_b32 v24, v2 :: v_dual_add_nc_u32 v1, 10, v1
	v_add_co_ci_u32_e32 v11, vcc_lo, s1, v12, vcc_lo
	v_add_co_u32 v12, vcc_lo, s0, v13
	v_lshlrev_b64 v[21:22], 2, v[21:22]
	v_add_co_ci_u32_e32 v13, vcc_lo, s1, v14, vcc_lo
	v_add_co_u32 v14, vcc_lo, s0, v15
	v_lshlrev_b64 v[23:24], 2, v[23:24]
	v_add_co_ci_u32_e32 v15, vcc_lo, s1, v16, vcc_lo
	v_add_co_u32 v21, vcc_lo, s0, v21
	v_lshlrev_b64 v[1:2], 2, v[1:2]
	v_add_co_ci_u32_e32 v22, vcc_lo, s1, v22, vcc_lo
	v_add_co_u32 v23, vcc_lo, s0, v23
	v_add_co_ci_u32_e32 v24, vcc_lo, s1, v24, vcc_lo
	s_delay_alu instid0(VALU_DEP_4)
	v_add_co_u32 v25, vcc_lo, s0, v1
	v_add_co_ci_u32_e32 v26, vcc_lo, s1, v2, vcc_lo
	s_clause 0xa
	global_load_b32 v9, v[17:18], off
	global_load_b32 v1, v[3:4], off
	;; [unrolled: 1-line block ×11, first 2 shown]
	v_dual_mov_b32 v13, 0x7c :: v_dual_lshlrev_b32 v12, 2, v0
	s_movk_i32 s0, 0x64
	s_set_inst_prefetch_distance 0x1
	.p2align	6
.LBB152_1:                              ; =>This Inner Loop Header: Depth=1
	s_waitcnt vmcnt(9) lgkmcnt(0)
	v_add_f32_e32 v9, v1, v9
	s_waitcnt vmcnt(0)
	s_barrier
	buffer_gl0_inv
	ds_load_b32 v14, v12 offset:128
	v_add_f32_e32 v9, v2, v9
	s_add_i32 s0, s0, -1
	s_delay_alu instid0(SALU_CYCLE_1) | instskip(NEXT) | instid1(VALU_DEP_1)
	s_cmp_eq_u32 s0, 0
	v_add_f32_e32 v9, v3, v9
	s_delay_alu instid0(VALU_DEP_1) | instskip(NEXT) | instid1(VALU_DEP_1)
	v_add_f32_e32 v9, v4, v9
	v_add_f32_e32 v9, v5, v9
	s_delay_alu instid0(VALU_DEP_1) | instskip(NEXT) | instid1(VALU_DEP_1)
	v_add_f32_e32 v9, v6, v9
	;; [unrolled: 3-line block ×3, first 2 shown]
	v_add_f32_e32 v9, v10, v9
	s_delay_alu instid0(VALU_DEP_1) | instskip(SKIP_1) | instid1(VALU_DEP_1)
	v_add_f32_e32 v9, v11, v9
	s_waitcnt lgkmcnt(0)
	v_add_f32_e32 v9, v14, v9
	s_delay_alu instid0(VALU_DEP_1) | instskip(NEXT) | instid1(VALU_DEP_1)
	v_mov_b32_dpp v14, v9 quad_perm:[1,0,3,2] row_mask:0xf bank_mask:0xf
	v_add_f32_e32 v9, v9, v14
	s_delay_alu instid0(VALU_DEP_1) | instskip(NEXT) | instid1(VALU_DEP_1)
	v_mov_b32_dpp v14, v9 quad_perm:[2,3,0,1] row_mask:0xf bank_mask:0xf
	v_add_f32_e32 v9, v9, v14
	s_delay_alu instid0(VALU_DEP_1) | instskip(NEXT) | instid1(VALU_DEP_1)
	v_mov_b32_dpp v14, v9 row_ror:4 row_mask:0xf bank_mask:0xf
	v_add_f32_e32 v9, v9, v14
	s_delay_alu instid0(VALU_DEP_1) | instskip(NEXT) | instid1(VALU_DEP_1)
	v_mov_b32_dpp v14, v9 row_ror:8 row_mask:0xf bank_mask:0xf
	v_add_f32_e32 v9, v9, v14
	ds_swizzle_b32 v14, v9 offset:swizzle(BROADCAST,32,15)
	s_waitcnt lgkmcnt(0)
	v_add_f32_e32 v9, v9, v14
	ds_bpermute_b32 v9, v13, v9
	s_cbranch_scc0 .LBB152_1
; %bb.2:
	s_set_inst_prefetch_distance 0x2
	s_mov_b32 s5, 0
	s_mov_b32 s0, exec_lo
	v_cmpx_eq_u32_e32 0, v0
	s_cbranch_execz .LBB152_4
; %bb.3:
	s_lshl_b64 s[0:1], s[4:5], 2
	v_mov_b32_e32 v0, 0
	s_add_u32 s0, s2, s0
	s_addc_u32 s1, s3, s1
	s_waitcnt lgkmcnt(0)
	global_store_b32 v0, v9, s[0:1]
.LBB152_4:
	s_nop 0
	s_sendmsg sendmsg(MSG_DEALLOC_VGPRS)
	s_endpgm
	.section	.rodata,"a",@progbits
	.p2align	6, 0x0
	.amdhsa_kernel _Z6kernelI6reduceILN6hipcub20BlockReduceAlgorithmE2EEfLj64ELj11ELj100EEvPKT0_PS4_
		.amdhsa_group_segment_fixed_size 256
		.amdhsa_private_segment_fixed_size 0
		.amdhsa_kernarg_size 272
		.amdhsa_user_sgpr_count 15
		.amdhsa_user_sgpr_dispatch_ptr 0
		.amdhsa_user_sgpr_queue_ptr 0
		.amdhsa_user_sgpr_kernarg_segment_ptr 1
		.amdhsa_user_sgpr_dispatch_id 0
		.amdhsa_user_sgpr_private_segment_size 0
		.amdhsa_wavefront_size32 1
		.amdhsa_uses_dynamic_stack 0
		.amdhsa_enable_private_segment 0
		.amdhsa_system_sgpr_workgroup_id_x 1
		.amdhsa_system_sgpr_workgroup_id_y 0
		.amdhsa_system_sgpr_workgroup_id_z 0
		.amdhsa_system_sgpr_workgroup_info 0
		.amdhsa_system_vgpr_workitem_id 0
		.amdhsa_next_free_vgpr 27
		.amdhsa_next_free_sgpr 16
		.amdhsa_reserve_vcc 1
		.amdhsa_float_round_mode_32 0
		.amdhsa_float_round_mode_16_64 0
		.amdhsa_float_denorm_mode_32 3
		.amdhsa_float_denorm_mode_16_64 3
		.amdhsa_dx10_clamp 1
		.amdhsa_ieee_mode 1
		.amdhsa_fp16_overflow 0
		.amdhsa_workgroup_processor_mode 1
		.amdhsa_memory_ordered 1
		.amdhsa_forward_progress 0
		.amdhsa_shared_vgpr_count 0
		.amdhsa_exception_fp_ieee_invalid_op 0
		.amdhsa_exception_fp_denorm_src 0
		.amdhsa_exception_fp_ieee_div_zero 0
		.amdhsa_exception_fp_ieee_overflow 0
		.amdhsa_exception_fp_ieee_underflow 0
		.amdhsa_exception_fp_ieee_inexact 0
		.amdhsa_exception_int_div_zero 0
	.end_amdhsa_kernel
	.section	.text._Z6kernelI6reduceILN6hipcub20BlockReduceAlgorithmE2EEfLj64ELj11ELj100EEvPKT0_PS4_,"axG",@progbits,_Z6kernelI6reduceILN6hipcub20BlockReduceAlgorithmE2EEfLj64ELj11ELj100EEvPKT0_PS4_,comdat
.Lfunc_end152:
	.size	_Z6kernelI6reduceILN6hipcub20BlockReduceAlgorithmE2EEfLj64ELj11ELj100EEvPKT0_PS4_, .Lfunc_end152-_Z6kernelI6reduceILN6hipcub20BlockReduceAlgorithmE2EEfLj64ELj11ELj100EEvPKT0_PS4_
                                        ; -- End function
	.section	.AMDGPU.csdata,"",@progbits
; Kernel info:
; codeLenInByte = 736
; NumSgprs: 18
; NumVgprs: 27
; ScratchSize: 0
; MemoryBound: 0
; FloatMode: 240
; IeeeMode: 1
; LDSByteSize: 256 bytes/workgroup (compile time only)
; SGPRBlocks: 2
; VGPRBlocks: 3
; NumSGPRsForWavesPerEU: 18
; NumVGPRsForWavesPerEU: 27
; Occupancy: 16
; WaveLimiterHint : 0
; COMPUTE_PGM_RSRC2:SCRATCH_EN: 0
; COMPUTE_PGM_RSRC2:USER_SGPR: 15
; COMPUTE_PGM_RSRC2:TRAP_HANDLER: 0
; COMPUTE_PGM_RSRC2:TGID_X_EN: 1
; COMPUTE_PGM_RSRC2:TGID_Y_EN: 0
; COMPUTE_PGM_RSRC2:TGID_Z_EN: 0
; COMPUTE_PGM_RSRC2:TIDIG_COMP_CNT: 0
	.section	.text._Z6kernelI6reduceILN6hipcub20BlockReduceAlgorithmE2EEfLj64ELj16ELj100EEvPKT0_PS4_,"axG",@progbits,_Z6kernelI6reduceILN6hipcub20BlockReduceAlgorithmE2EEfLj64ELj16ELj100EEvPKT0_PS4_,comdat
	.protected	_Z6kernelI6reduceILN6hipcub20BlockReduceAlgorithmE2EEfLj64ELj16ELj100EEvPKT0_PS4_ ; -- Begin function _Z6kernelI6reduceILN6hipcub20BlockReduceAlgorithmE2EEfLj64ELj16ELj100EEvPKT0_PS4_
	.globl	_Z6kernelI6reduceILN6hipcub20BlockReduceAlgorithmE2EEfLj64ELj16ELj100EEvPKT0_PS4_
	.p2align	8
	.type	_Z6kernelI6reduceILN6hipcub20BlockReduceAlgorithmE2EEfLj64ELj16ELj100EEvPKT0_PS4_,@function
_Z6kernelI6reduceILN6hipcub20BlockReduceAlgorithmE2EEfLj64ELj16ELj100EEvPKT0_PS4_: ; @_Z6kernelI6reduceILN6hipcub20BlockReduceAlgorithmE2EEfLj64ELj16ELj100EEvPKT0_PS4_
; %bb.0:
	s_clause 0x1
	s_load_b32 s5, s[0:1], 0x1c
	s_load_b128 s[0:3], s[0:1], 0x0
	v_dual_mov_b32 v2, 0 :: v_dual_lshlrev_b32 v17, 2, v0
	v_mov_b32_e32 v18, 0x7c
	s_mov_b32 s4, s15
	s_waitcnt lgkmcnt(0)
	s_and_b32 s5, s5, 0xffff
	s_delay_alu instid0(SALU_CYCLE_1) | instskip(NEXT) | instid1(SALU_CYCLE_1)
	s_mul_i32 s5, s15, s5
	v_add_lshl_u32 v1, s5, v0, 4
	s_delay_alu instid0(VALU_DEP_1) | instskip(NEXT) | instid1(VALU_DEP_1)
	v_lshlrev_b64 v[1:2], 2, v[1:2]
	v_add_co_u32 v13, vcc_lo, s0, v1
	s_delay_alu instid0(VALU_DEP_2)
	v_add_co_ci_u32_e32 v14, vcc_lo, s1, v2, vcc_lo
	s_movk_i32 s0, 0x64
	s_clause 0x3
	global_load_b128 v[1:4], v[13:14], off
	global_load_b128 v[5:8], v[13:14], off offset:16
	global_load_b128 v[9:12], v[13:14], off offset:32
	;; [unrolled: 1-line block ×3, first 2 shown]
	s_set_inst_prefetch_distance 0x1
	.p2align	6
.LBB153_1:                              ; =>This Inner Loop Header: Depth=1
	s_waitcnt vmcnt(3) lgkmcnt(0)
	v_add_f32_e32 v1, v2, v1
	s_waitcnt vmcnt(0)
	s_barrier
	buffer_gl0_inv
	ds_load_b32 v19, v17 offset:128
	v_add_f32_e32 v1, v3, v1
	s_add_i32 s0, s0, -1
	s_delay_alu instid0(SALU_CYCLE_1) | instskip(NEXT) | instid1(VALU_DEP_1)
	s_cmp_eq_u32 s0, 0
	v_add_f32_e32 v1, v4, v1
	s_delay_alu instid0(VALU_DEP_1) | instskip(NEXT) | instid1(VALU_DEP_1)
	v_add_f32_e32 v1, v5, v1
	v_add_f32_e32 v1, v6, v1
	s_delay_alu instid0(VALU_DEP_1) | instskip(NEXT) | instid1(VALU_DEP_1)
	v_add_f32_e32 v1, v7, v1
	;; [unrolled: 3-line block ×6, first 2 shown]
	v_add_f32_e32 v1, v16, v1
	s_waitcnt lgkmcnt(0)
	s_delay_alu instid0(VALU_DEP_1) | instskip(NEXT) | instid1(VALU_DEP_1)
	v_add_f32_e32 v1, v19, v1
	v_mov_b32_dpp v19, v1 quad_perm:[1,0,3,2] row_mask:0xf bank_mask:0xf
	s_delay_alu instid0(VALU_DEP_1) | instskip(NEXT) | instid1(VALU_DEP_1)
	v_add_f32_e32 v1, v1, v19
	v_mov_b32_dpp v19, v1 quad_perm:[2,3,0,1] row_mask:0xf bank_mask:0xf
	s_delay_alu instid0(VALU_DEP_1) | instskip(NEXT) | instid1(VALU_DEP_1)
	v_add_f32_e32 v1, v1, v19
	v_mov_b32_dpp v19, v1 row_ror:4 row_mask:0xf bank_mask:0xf
	s_delay_alu instid0(VALU_DEP_1) | instskip(NEXT) | instid1(VALU_DEP_1)
	v_add_f32_e32 v1, v1, v19
	v_mov_b32_dpp v19, v1 row_ror:8 row_mask:0xf bank_mask:0xf
	s_delay_alu instid0(VALU_DEP_1)
	v_add_f32_e32 v1, v1, v19
	ds_swizzle_b32 v19, v1 offset:swizzle(BROADCAST,32,15)
	s_waitcnt lgkmcnt(0)
	v_add_f32_e32 v1, v1, v19
	ds_bpermute_b32 v1, v18, v1
	s_cbranch_scc0 .LBB153_1
; %bb.2:
	s_set_inst_prefetch_distance 0x2
	s_mov_b32 s5, 0
	s_mov_b32 s0, exec_lo
	v_cmpx_eq_u32_e32 0, v0
	s_cbranch_execz .LBB153_4
; %bb.3:
	s_lshl_b64 s[0:1], s[4:5], 2
	v_mov_b32_e32 v0, 0
	s_add_u32 s0, s2, s0
	s_addc_u32 s1, s3, s1
	s_waitcnt lgkmcnt(0)
	global_store_b32 v0, v1, s[0:1]
.LBB153_4:
	s_nop 0
	s_sendmsg sendmsg(MSG_DEALLOC_VGPRS)
	s_endpgm
	.section	.rodata,"a",@progbits
	.p2align	6, 0x0
	.amdhsa_kernel _Z6kernelI6reduceILN6hipcub20BlockReduceAlgorithmE2EEfLj64ELj16ELj100EEvPKT0_PS4_
		.amdhsa_group_segment_fixed_size 256
		.amdhsa_private_segment_fixed_size 0
		.amdhsa_kernarg_size 272
		.amdhsa_user_sgpr_count 15
		.amdhsa_user_sgpr_dispatch_ptr 0
		.amdhsa_user_sgpr_queue_ptr 0
		.amdhsa_user_sgpr_kernarg_segment_ptr 1
		.amdhsa_user_sgpr_dispatch_id 0
		.amdhsa_user_sgpr_private_segment_size 0
		.amdhsa_wavefront_size32 1
		.amdhsa_uses_dynamic_stack 0
		.amdhsa_enable_private_segment 0
		.amdhsa_system_sgpr_workgroup_id_x 1
		.amdhsa_system_sgpr_workgroup_id_y 0
		.amdhsa_system_sgpr_workgroup_id_z 0
		.amdhsa_system_sgpr_workgroup_info 0
		.amdhsa_system_vgpr_workitem_id 0
		.amdhsa_next_free_vgpr 20
		.amdhsa_next_free_sgpr 16
		.amdhsa_reserve_vcc 1
		.amdhsa_float_round_mode_32 0
		.amdhsa_float_round_mode_16_64 0
		.amdhsa_float_denorm_mode_32 3
		.amdhsa_float_denorm_mode_16_64 3
		.amdhsa_dx10_clamp 1
		.amdhsa_ieee_mode 1
		.amdhsa_fp16_overflow 0
		.amdhsa_workgroup_processor_mode 1
		.amdhsa_memory_ordered 1
		.amdhsa_forward_progress 0
		.amdhsa_shared_vgpr_count 0
		.amdhsa_exception_fp_ieee_invalid_op 0
		.amdhsa_exception_fp_denorm_src 0
		.amdhsa_exception_fp_ieee_div_zero 0
		.amdhsa_exception_fp_ieee_overflow 0
		.amdhsa_exception_fp_ieee_underflow 0
		.amdhsa_exception_fp_ieee_inexact 0
		.amdhsa_exception_int_div_zero 0
	.end_amdhsa_kernel
	.section	.text._Z6kernelI6reduceILN6hipcub20BlockReduceAlgorithmE2EEfLj64ELj16ELj100EEvPKT0_PS4_,"axG",@progbits,_Z6kernelI6reduceILN6hipcub20BlockReduceAlgorithmE2EEfLj64ELj16ELj100EEvPKT0_PS4_,comdat
.Lfunc_end153:
	.size	_Z6kernelI6reduceILN6hipcub20BlockReduceAlgorithmE2EEfLj64ELj16ELj100EEvPKT0_PS4_, .Lfunc_end153-_Z6kernelI6reduceILN6hipcub20BlockReduceAlgorithmE2EEfLj64ELj16ELj100EEvPKT0_PS4_
                                        ; -- End function
	.section	.AMDGPU.csdata,"",@progbits
; Kernel info:
; codeLenInByte = 428
; NumSgprs: 18
; NumVgprs: 20
; ScratchSize: 0
; MemoryBound: 0
; FloatMode: 240
; IeeeMode: 1
; LDSByteSize: 256 bytes/workgroup (compile time only)
; SGPRBlocks: 2
; VGPRBlocks: 2
; NumSGPRsForWavesPerEU: 18
; NumVGPRsForWavesPerEU: 20
; Occupancy: 16
; WaveLimiterHint : 0
; COMPUTE_PGM_RSRC2:SCRATCH_EN: 0
; COMPUTE_PGM_RSRC2:USER_SGPR: 15
; COMPUTE_PGM_RSRC2:TRAP_HANDLER: 0
; COMPUTE_PGM_RSRC2:TGID_X_EN: 1
; COMPUTE_PGM_RSRC2:TGID_Y_EN: 0
; COMPUTE_PGM_RSRC2:TGID_Z_EN: 0
; COMPUTE_PGM_RSRC2:TIDIG_COMP_CNT: 0
	.section	.text._Z6kernelI6reduceILN6hipcub20BlockReduceAlgorithmE2EEdLj64ELj1ELj100EEvPKT0_PS4_,"axG",@progbits,_Z6kernelI6reduceILN6hipcub20BlockReduceAlgorithmE2EEdLj64ELj1ELj100EEvPKT0_PS4_,comdat
	.protected	_Z6kernelI6reduceILN6hipcub20BlockReduceAlgorithmE2EEdLj64ELj1ELj100EEvPKT0_PS4_ ; -- Begin function _Z6kernelI6reduceILN6hipcub20BlockReduceAlgorithmE2EEdLj64ELj1ELj100EEvPKT0_PS4_
	.globl	_Z6kernelI6reduceILN6hipcub20BlockReduceAlgorithmE2EEdLj64ELj1ELj100EEvPKT0_PS4_
	.p2align	8
	.type	_Z6kernelI6reduceILN6hipcub20BlockReduceAlgorithmE2EEdLj64ELj1ELj100EEvPKT0_PS4_,@function
_Z6kernelI6reduceILN6hipcub20BlockReduceAlgorithmE2EEdLj64ELj1ELj100EEvPKT0_PS4_: ; @_Z6kernelI6reduceILN6hipcub20BlockReduceAlgorithmE2EEdLj64ELj1ELj100EEvPKT0_PS4_
; %bb.0:
	s_clause 0x1
	s_load_b32 s5, s[0:1], 0x1c
	s_load_b128 s[0:3], s[0:1], 0x0
	s_mov_b32 s4, s15
	v_dual_mov_b32 v4, 0x7c :: v_dual_lshlrev_b32 v3, 2, v0
	s_waitcnt lgkmcnt(0)
	s_and_b32 s5, s5, 0xffff
	s_delay_alu instid0(SALU_CYCLE_1) | instskip(SKIP_1) | instid1(VALU_DEP_1)
	v_mad_u64_u32 v[1:2], null, s4, s5, v[0:1]
	v_mov_b32_e32 v2, 0
	v_lshlrev_b64 v[1:2], 3, v[1:2]
	s_delay_alu instid0(VALU_DEP_1) | instskip(NEXT) | instid1(VALU_DEP_2)
	v_add_co_u32 v1, vcc_lo, s0, v1
	v_add_co_ci_u32_e32 v2, vcc_lo, s1, v2, vcc_lo
	s_movk_i32 s0, 0x64
	global_load_b64 v[1:2], v[1:2], off
	s_set_inst_prefetch_distance 0x1
	.p2align	6
.LBB154_1:                              ; =>This Inner Loop Header: Depth=1
	s_waitcnt vmcnt(0) lgkmcnt(0)
	s_barrier
	buffer_gl0_inv
	ds_load_2addr_b32 v[5:6], v3 offset0:32 offset1:96
	s_add_i32 s0, s0, -1
	s_delay_alu instid0(SALU_CYCLE_1) | instskip(SKIP_2) | instid1(VALU_DEP_1)
	s_cmp_eq_u32 s0, 0
	s_waitcnt lgkmcnt(0)
	v_add_f64 v[1:2], v[1:2], v[5:6]
	v_mov_b32_dpp v5, v1 quad_perm:[1,0,3,2] row_mask:0xf bank_mask:0xf
	s_delay_alu instid0(VALU_DEP_2) | instskip(NEXT) | instid1(VALU_DEP_1)
	v_mov_b32_dpp v6, v2 quad_perm:[1,0,3,2] row_mask:0xf bank_mask:0xf
	v_add_f64 v[1:2], v[1:2], v[5:6]
	s_delay_alu instid0(VALU_DEP_1) | instskip(NEXT) | instid1(VALU_DEP_2)
	v_mov_b32_dpp v5, v1 quad_perm:[2,3,0,1] row_mask:0xf bank_mask:0xf
	v_mov_b32_dpp v6, v2 quad_perm:[2,3,0,1] row_mask:0xf bank_mask:0xf
	s_delay_alu instid0(VALU_DEP_1) | instskip(NEXT) | instid1(VALU_DEP_1)
	v_add_f64 v[1:2], v[1:2], v[5:6]
	v_mov_b32_dpp v5, v1 row_ror:4 row_mask:0xf bank_mask:0xf
	s_delay_alu instid0(VALU_DEP_2) | instskip(NEXT) | instid1(VALU_DEP_1)
	v_mov_b32_dpp v6, v2 row_ror:4 row_mask:0xf bank_mask:0xf
	v_add_f64 v[1:2], v[1:2], v[5:6]
	s_delay_alu instid0(VALU_DEP_1) | instskip(NEXT) | instid1(VALU_DEP_2)
	v_mov_b32_dpp v5, v1 row_ror:8 row_mask:0xf bank_mask:0xf
	v_mov_b32_dpp v6, v2 row_ror:8 row_mask:0xf bank_mask:0xf
	s_delay_alu instid0(VALU_DEP_1)
	v_add_f64 v[1:2], v[1:2], v[5:6]
	ds_swizzle_b32 v5, v1 offset:swizzle(BROADCAST,32,15)
	ds_swizzle_b32 v6, v2 offset:swizzle(BROADCAST,32,15)
	s_waitcnt lgkmcnt(0)
	v_add_f64 v[1:2], v[1:2], v[5:6]
	ds_bpermute_b32 v1, v4, v1
	ds_bpermute_b32 v2, v4, v2
	s_cbranch_scc0 .LBB154_1
; %bb.2:
	s_set_inst_prefetch_distance 0x2
	s_mov_b32 s5, 0
	s_mov_b32 s0, exec_lo
	v_cmpx_eq_u32_e32 0, v0
	s_cbranch_execz .LBB154_4
; %bb.3:
	s_lshl_b64 s[0:1], s[4:5], 3
	v_mov_b32_e32 v0, 0
	s_add_u32 s0, s2, s0
	s_addc_u32 s1, s3, s1
	s_waitcnt lgkmcnt(0)
	global_store_b64 v0, v[1:2], s[0:1]
.LBB154_4:
	s_nop 0
	s_sendmsg sendmsg(MSG_DEALLOC_VGPRS)
	s_endpgm
	.section	.rodata,"a",@progbits
	.p2align	6, 0x0
	.amdhsa_kernel _Z6kernelI6reduceILN6hipcub20BlockReduceAlgorithmE2EEdLj64ELj1ELj100EEvPKT0_PS4_
		.amdhsa_group_segment_fixed_size 512
		.amdhsa_private_segment_fixed_size 0
		.amdhsa_kernarg_size 272
		.amdhsa_user_sgpr_count 15
		.amdhsa_user_sgpr_dispatch_ptr 0
		.amdhsa_user_sgpr_queue_ptr 0
		.amdhsa_user_sgpr_kernarg_segment_ptr 1
		.amdhsa_user_sgpr_dispatch_id 0
		.amdhsa_user_sgpr_private_segment_size 0
		.amdhsa_wavefront_size32 1
		.amdhsa_uses_dynamic_stack 0
		.amdhsa_enable_private_segment 0
		.amdhsa_system_sgpr_workgroup_id_x 1
		.amdhsa_system_sgpr_workgroup_id_y 0
		.amdhsa_system_sgpr_workgroup_id_z 0
		.amdhsa_system_sgpr_workgroup_info 0
		.amdhsa_system_vgpr_workitem_id 0
		.amdhsa_next_free_vgpr 7
		.amdhsa_next_free_sgpr 16
		.amdhsa_reserve_vcc 1
		.amdhsa_float_round_mode_32 0
		.amdhsa_float_round_mode_16_64 0
		.amdhsa_float_denorm_mode_32 3
		.amdhsa_float_denorm_mode_16_64 3
		.amdhsa_dx10_clamp 1
		.amdhsa_ieee_mode 1
		.amdhsa_fp16_overflow 0
		.amdhsa_workgroup_processor_mode 1
		.amdhsa_memory_ordered 1
		.amdhsa_forward_progress 0
		.amdhsa_shared_vgpr_count 0
		.amdhsa_exception_fp_ieee_invalid_op 0
		.amdhsa_exception_fp_denorm_src 0
		.amdhsa_exception_fp_ieee_div_zero 0
		.amdhsa_exception_fp_ieee_overflow 0
		.amdhsa_exception_fp_ieee_underflow 0
		.amdhsa_exception_fp_ieee_inexact 0
		.amdhsa_exception_int_div_zero 0
	.end_amdhsa_kernel
	.section	.text._Z6kernelI6reduceILN6hipcub20BlockReduceAlgorithmE2EEdLj64ELj1ELj100EEvPKT0_PS4_,"axG",@progbits,_Z6kernelI6reduceILN6hipcub20BlockReduceAlgorithmE2EEdLj64ELj1ELj100EEvPKT0_PS4_,comdat
.Lfunc_end154:
	.size	_Z6kernelI6reduceILN6hipcub20BlockReduceAlgorithmE2EEdLj64ELj1ELj100EEvPKT0_PS4_, .Lfunc_end154-_Z6kernelI6reduceILN6hipcub20BlockReduceAlgorithmE2EEdLj64ELj1ELj100EEvPKT0_PS4_
                                        ; -- End function
	.section	.AMDGPU.csdata,"",@progbits
; Kernel info:
; codeLenInByte = 380
; NumSgprs: 18
; NumVgprs: 7
; ScratchSize: 0
; MemoryBound: 0
; FloatMode: 240
; IeeeMode: 1
; LDSByteSize: 512 bytes/workgroup (compile time only)
; SGPRBlocks: 2
; VGPRBlocks: 0
; NumSGPRsForWavesPerEU: 18
; NumVGPRsForWavesPerEU: 7
; Occupancy: 16
; WaveLimiterHint : 0
; COMPUTE_PGM_RSRC2:SCRATCH_EN: 0
; COMPUTE_PGM_RSRC2:USER_SGPR: 15
; COMPUTE_PGM_RSRC2:TRAP_HANDLER: 0
; COMPUTE_PGM_RSRC2:TGID_X_EN: 1
; COMPUTE_PGM_RSRC2:TGID_Y_EN: 0
; COMPUTE_PGM_RSRC2:TGID_Z_EN: 0
; COMPUTE_PGM_RSRC2:TIDIG_COMP_CNT: 0
	.section	.text._Z6kernelI6reduceILN6hipcub20BlockReduceAlgorithmE2EEdLj64ELj2ELj100EEvPKT0_PS4_,"axG",@progbits,_Z6kernelI6reduceILN6hipcub20BlockReduceAlgorithmE2EEdLj64ELj2ELj100EEvPKT0_PS4_,comdat
	.protected	_Z6kernelI6reduceILN6hipcub20BlockReduceAlgorithmE2EEdLj64ELj2ELj100EEvPKT0_PS4_ ; -- Begin function _Z6kernelI6reduceILN6hipcub20BlockReduceAlgorithmE2EEdLj64ELj2ELj100EEvPKT0_PS4_
	.globl	_Z6kernelI6reduceILN6hipcub20BlockReduceAlgorithmE2EEdLj64ELj2ELj100EEvPKT0_PS4_
	.p2align	8
	.type	_Z6kernelI6reduceILN6hipcub20BlockReduceAlgorithmE2EEdLj64ELj2ELj100EEvPKT0_PS4_,@function
_Z6kernelI6reduceILN6hipcub20BlockReduceAlgorithmE2EEdLj64ELj2ELj100EEvPKT0_PS4_: ; @_Z6kernelI6reduceILN6hipcub20BlockReduceAlgorithmE2EEdLj64ELj2ELj100EEvPKT0_PS4_
; %bb.0:
	s_clause 0x1
	s_load_b32 s5, s[0:1], 0x1c
	s_load_b128 s[0:3], s[0:1], 0x0
	v_dual_mov_b32 v2, 0 :: v_dual_lshlrev_b32 v5, 2, v0
	v_mov_b32_e32 v6, 0x7c
	s_mov_b32 s4, s15
	s_waitcnt lgkmcnt(0)
	s_and_b32 s5, s5, 0xffff
	s_delay_alu instid0(SALU_CYCLE_1) | instskip(NEXT) | instid1(SALU_CYCLE_1)
	s_mul_i32 s5, s15, s5
	v_add_lshl_u32 v1, s5, v0, 1
	s_delay_alu instid0(VALU_DEP_1) | instskip(NEXT) | instid1(VALU_DEP_1)
	v_lshlrev_b64 v[1:2], 3, v[1:2]
	v_add_co_u32 v1, vcc_lo, s0, v1
	s_delay_alu instid0(VALU_DEP_2)
	v_add_co_ci_u32_e32 v2, vcc_lo, s1, v2, vcc_lo
	s_movk_i32 s0, 0x64
	global_load_b128 v[1:4], v[1:2], off
	s_set_inst_prefetch_distance 0x1
	.p2align	6
.LBB155_1:                              ; =>This Inner Loop Header: Depth=1
	s_waitcnt vmcnt(0) lgkmcnt(0)
	v_add_f64 v[1:2], v[1:2], v[3:4]
	s_barrier
	buffer_gl0_inv
	ds_load_2addr_b32 v[7:8], v5 offset0:32 offset1:96
	s_add_i32 s0, s0, -1
	s_delay_alu instid0(SALU_CYCLE_1) | instskip(SKIP_2) | instid1(VALU_DEP_1)
	s_cmp_eq_u32 s0, 0
	s_waitcnt lgkmcnt(0)
	v_add_f64 v[1:2], v[1:2], v[7:8]
	v_mov_b32_dpp v7, v1 quad_perm:[1,0,3,2] row_mask:0xf bank_mask:0xf
	s_delay_alu instid0(VALU_DEP_2) | instskip(NEXT) | instid1(VALU_DEP_1)
	v_mov_b32_dpp v8, v2 quad_perm:[1,0,3,2] row_mask:0xf bank_mask:0xf
	v_add_f64 v[1:2], v[1:2], v[7:8]
	s_delay_alu instid0(VALU_DEP_1) | instskip(NEXT) | instid1(VALU_DEP_2)
	v_mov_b32_dpp v7, v1 quad_perm:[2,3,0,1] row_mask:0xf bank_mask:0xf
	v_mov_b32_dpp v8, v2 quad_perm:[2,3,0,1] row_mask:0xf bank_mask:0xf
	s_delay_alu instid0(VALU_DEP_1) | instskip(NEXT) | instid1(VALU_DEP_1)
	v_add_f64 v[1:2], v[1:2], v[7:8]
	v_mov_b32_dpp v7, v1 row_ror:4 row_mask:0xf bank_mask:0xf
	s_delay_alu instid0(VALU_DEP_2) | instskip(NEXT) | instid1(VALU_DEP_1)
	v_mov_b32_dpp v8, v2 row_ror:4 row_mask:0xf bank_mask:0xf
	v_add_f64 v[1:2], v[1:2], v[7:8]
	s_delay_alu instid0(VALU_DEP_1) | instskip(NEXT) | instid1(VALU_DEP_2)
	v_mov_b32_dpp v7, v1 row_ror:8 row_mask:0xf bank_mask:0xf
	v_mov_b32_dpp v8, v2 row_ror:8 row_mask:0xf bank_mask:0xf
	s_delay_alu instid0(VALU_DEP_1)
	v_add_f64 v[1:2], v[1:2], v[7:8]
	ds_swizzle_b32 v7, v1 offset:swizzle(BROADCAST,32,15)
	ds_swizzle_b32 v8, v2 offset:swizzle(BROADCAST,32,15)
	s_waitcnt lgkmcnt(0)
	v_add_f64 v[1:2], v[1:2], v[7:8]
	ds_bpermute_b32 v1, v6, v1
	ds_bpermute_b32 v2, v6, v2
	s_cbranch_scc0 .LBB155_1
; %bb.2:
	s_set_inst_prefetch_distance 0x2
	s_mov_b32 s5, 0
	s_mov_b32 s0, exec_lo
	v_cmpx_eq_u32_e32 0, v0
	s_cbranch_execz .LBB155_4
; %bb.3:
	s_lshl_b64 s[0:1], s[4:5], 3
	v_mov_b32_e32 v0, 0
	s_add_u32 s0, s2, s0
	s_addc_u32 s1, s3, s1
	s_waitcnt lgkmcnt(0)
	global_store_b64 v0, v[1:2], s[0:1]
.LBB155_4:
	s_nop 0
	s_sendmsg sendmsg(MSG_DEALLOC_VGPRS)
	s_endpgm
	.section	.rodata,"a",@progbits
	.p2align	6, 0x0
	.amdhsa_kernel _Z6kernelI6reduceILN6hipcub20BlockReduceAlgorithmE2EEdLj64ELj2ELj100EEvPKT0_PS4_
		.amdhsa_group_segment_fixed_size 512
		.amdhsa_private_segment_fixed_size 0
		.amdhsa_kernarg_size 272
		.amdhsa_user_sgpr_count 15
		.amdhsa_user_sgpr_dispatch_ptr 0
		.amdhsa_user_sgpr_queue_ptr 0
		.amdhsa_user_sgpr_kernarg_segment_ptr 1
		.amdhsa_user_sgpr_dispatch_id 0
		.amdhsa_user_sgpr_private_segment_size 0
		.amdhsa_wavefront_size32 1
		.amdhsa_uses_dynamic_stack 0
		.amdhsa_enable_private_segment 0
		.amdhsa_system_sgpr_workgroup_id_x 1
		.amdhsa_system_sgpr_workgroup_id_y 0
		.amdhsa_system_sgpr_workgroup_id_z 0
		.amdhsa_system_sgpr_workgroup_info 0
		.amdhsa_system_vgpr_workitem_id 0
		.amdhsa_next_free_vgpr 9
		.amdhsa_next_free_sgpr 16
		.amdhsa_reserve_vcc 1
		.amdhsa_float_round_mode_32 0
		.amdhsa_float_round_mode_16_64 0
		.amdhsa_float_denorm_mode_32 3
		.amdhsa_float_denorm_mode_16_64 3
		.amdhsa_dx10_clamp 1
		.amdhsa_ieee_mode 1
		.amdhsa_fp16_overflow 0
		.amdhsa_workgroup_processor_mode 1
		.amdhsa_memory_ordered 1
		.amdhsa_forward_progress 0
		.amdhsa_shared_vgpr_count 0
		.amdhsa_exception_fp_ieee_invalid_op 0
		.amdhsa_exception_fp_denorm_src 0
		.amdhsa_exception_fp_ieee_div_zero 0
		.amdhsa_exception_fp_ieee_overflow 0
		.amdhsa_exception_fp_ieee_underflow 0
		.amdhsa_exception_fp_ieee_inexact 0
		.amdhsa_exception_int_div_zero 0
	.end_amdhsa_kernel
	.section	.text._Z6kernelI6reduceILN6hipcub20BlockReduceAlgorithmE2EEdLj64ELj2ELj100EEvPKT0_PS4_,"axG",@progbits,_Z6kernelI6reduceILN6hipcub20BlockReduceAlgorithmE2EEdLj64ELj2ELj100EEvPKT0_PS4_,comdat
.Lfunc_end155:
	.size	_Z6kernelI6reduceILN6hipcub20BlockReduceAlgorithmE2EEdLj64ELj2ELj100EEvPKT0_PS4_, .Lfunc_end155-_Z6kernelI6reduceILN6hipcub20BlockReduceAlgorithmE2EEdLj64ELj2ELj100EEvPKT0_PS4_
                                        ; -- End function
	.section	.AMDGPU.csdata,"",@progbits
; Kernel info:
; codeLenInByte = 396
; NumSgprs: 18
; NumVgprs: 9
; ScratchSize: 0
; MemoryBound: 0
; FloatMode: 240
; IeeeMode: 1
; LDSByteSize: 512 bytes/workgroup (compile time only)
; SGPRBlocks: 2
; VGPRBlocks: 1
; NumSGPRsForWavesPerEU: 18
; NumVGPRsForWavesPerEU: 9
; Occupancy: 16
; WaveLimiterHint : 0
; COMPUTE_PGM_RSRC2:SCRATCH_EN: 0
; COMPUTE_PGM_RSRC2:USER_SGPR: 15
; COMPUTE_PGM_RSRC2:TRAP_HANDLER: 0
; COMPUTE_PGM_RSRC2:TGID_X_EN: 1
; COMPUTE_PGM_RSRC2:TGID_Y_EN: 0
; COMPUTE_PGM_RSRC2:TGID_Z_EN: 0
; COMPUTE_PGM_RSRC2:TIDIG_COMP_CNT: 0
	.section	.text._Z6kernelI6reduceILN6hipcub20BlockReduceAlgorithmE2EEdLj64ELj3ELj100EEvPKT0_PS4_,"axG",@progbits,_Z6kernelI6reduceILN6hipcub20BlockReduceAlgorithmE2EEdLj64ELj3ELj100EEvPKT0_PS4_,comdat
	.protected	_Z6kernelI6reduceILN6hipcub20BlockReduceAlgorithmE2EEdLj64ELj3ELj100EEvPKT0_PS4_ ; -- Begin function _Z6kernelI6reduceILN6hipcub20BlockReduceAlgorithmE2EEdLj64ELj3ELj100EEvPKT0_PS4_
	.globl	_Z6kernelI6reduceILN6hipcub20BlockReduceAlgorithmE2EEdLj64ELj3ELj100EEvPKT0_PS4_
	.p2align	8
	.type	_Z6kernelI6reduceILN6hipcub20BlockReduceAlgorithmE2EEdLj64ELj3ELj100EEvPKT0_PS4_,@function
_Z6kernelI6reduceILN6hipcub20BlockReduceAlgorithmE2EEdLj64ELj3ELj100EEvPKT0_PS4_: ; @_Z6kernelI6reduceILN6hipcub20BlockReduceAlgorithmE2EEdLj64ELj3ELj100EEvPKT0_PS4_
; %bb.0:
	s_load_b32 s2, s[0:1], 0x1c
	s_mov_b32 s4, s15
	s_waitcnt lgkmcnt(0)
	s_and_b32 s2, s2, 0xffff
	s_delay_alu instid0(SALU_CYCLE_1) | instskip(SKIP_1) | instid1(VALU_DEP_1)
	v_mad_u64_u32 v[1:2], null, s4, s2, v[0:1]
	s_load_b128 s[0:3], s[0:1], 0x0
	v_lshl_add_u32 v1, v1, 1, v1
	s_delay_alu instid0(VALU_DEP_1) | instskip(NEXT) | instid1(VALU_DEP_1)
	v_dual_mov_b32 v2, 0 :: v_dual_add_nc_u32 v3, 1, v1
	v_mov_b32_e32 v4, v2
	v_lshlrev_b64 v[5:6], 3, v[1:2]
	v_add_nc_u32_e32 v1, 2, v1
	s_delay_alu instid0(VALU_DEP_3) | instskip(NEXT) | instid1(VALU_DEP_2)
	v_lshlrev_b64 v[3:4], 3, v[3:4]
	v_lshlrev_b64 v[1:2], 3, v[1:2]
	s_waitcnt lgkmcnt(0)
	s_delay_alu instid0(VALU_DEP_4) | instskip(SKIP_1) | instid1(VALU_DEP_4)
	v_add_co_u32 v5, vcc_lo, s0, v5
	v_add_co_ci_u32_e32 v6, vcc_lo, s1, v6, vcc_lo
	v_add_co_u32 v3, vcc_lo, s0, v3
	v_add_co_ci_u32_e32 v4, vcc_lo, s1, v4, vcc_lo
	;; [unrolled: 2-line block ×3, first 2 shown]
	s_clause 0x2
	global_load_b64 v[5:6], v[5:6], off
	global_load_b64 v[1:2], v[3:4], off
	;; [unrolled: 1-line block ×3, first 2 shown]
	v_dual_mov_b32 v8, 0x7c :: v_dual_lshlrev_b32 v7, 2, v0
	s_movk_i32 s0, 0x64
	s_set_inst_prefetch_distance 0x1
	.p2align	6
.LBB156_1:                              ; =>This Inner Loop Header: Depth=1
	s_waitcnt vmcnt(1) lgkmcnt(0)
	v_add_f64 v[5:6], v[5:6], v[1:2]
	s_waitcnt vmcnt(0)
	s_barrier
	buffer_gl0_inv
	ds_load_2addr_b32 v[9:10], v7 offset0:32 offset1:96
	s_add_i32 s0, s0, -1
	s_delay_alu instid0(SALU_CYCLE_1) | instskip(SKIP_2) | instid1(VALU_DEP_1)
	s_cmp_eq_u32 s0, 0
	v_add_f64 v[5:6], v[3:4], v[5:6]
	s_waitcnt lgkmcnt(0)
	v_add_f64 v[5:6], v[5:6], v[9:10]
	s_delay_alu instid0(VALU_DEP_1) | instskip(NEXT) | instid1(VALU_DEP_2)
	v_mov_b32_dpp v9, v5 quad_perm:[1,0,3,2] row_mask:0xf bank_mask:0xf
	v_mov_b32_dpp v10, v6 quad_perm:[1,0,3,2] row_mask:0xf bank_mask:0xf
	s_delay_alu instid0(VALU_DEP_1) | instskip(NEXT) | instid1(VALU_DEP_1)
	v_add_f64 v[5:6], v[5:6], v[9:10]
	v_mov_b32_dpp v9, v5 quad_perm:[2,3,0,1] row_mask:0xf bank_mask:0xf
	s_delay_alu instid0(VALU_DEP_2) | instskip(NEXT) | instid1(VALU_DEP_1)
	v_mov_b32_dpp v10, v6 quad_perm:[2,3,0,1] row_mask:0xf bank_mask:0xf
	v_add_f64 v[5:6], v[5:6], v[9:10]
	s_delay_alu instid0(VALU_DEP_1) | instskip(NEXT) | instid1(VALU_DEP_2)
	v_mov_b32_dpp v9, v5 row_ror:4 row_mask:0xf bank_mask:0xf
	v_mov_b32_dpp v10, v6 row_ror:4 row_mask:0xf bank_mask:0xf
	s_delay_alu instid0(VALU_DEP_1) | instskip(NEXT) | instid1(VALU_DEP_1)
	v_add_f64 v[5:6], v[5:6], v[9:10]
	v_mov_b32_dpp v9, v5 row_ror:8 row_mask:0xf bank_mask:0xf
	s_delay_alu instid0(VALU_DEP_2) | instskip(NEXT) | instid1(VALU_DEP_1)
	v_mov_b32_dpp v10, v6 row_ror:8 row_mask:0xf bank_mask:0xf
	v_add_f64 v[5:6], v[5:6], v[9:10]
	ds_swizzle_b32 v9, v5 offset:swizzle(BROADCAST,32,15)
	ds_swizzle_b32 v10, v6 offset:swizzle(BROADCAST,32,15)
	s_waitcnt lgkmcnt(0)
	v_add_f64 v[5:6], v[5:6], v[9:10]
	ds_bpermute_b32 v5, v8, v5
	ds_bpermute_b32 v6, v8, v6
	s_cbranch_scc0 .LBB156_1
; %bb.2:
	s_set_inst_prefetch_distance 0x2
	s_mov_b32 s5, 0
	s_mov_b32 s0, exec_lo
	v_cmpx_eq_u32_e32 0, v0
	s_cbranch_execz .LBB156_4
; %bb.3:
	s_lshl_b64 s[0:1], s[4:5], 3
	v_mov_b32_e32 v0, 0
	s_add_u32 s0, s2, s0
	s_addc_u32 s1, s3, s1
	s_waitcnt lgkmcnt(0)
	global_store_b64 v0, v[5:6], s[0:1]
.LBB156_4:
	s_nop 0
	s_sendmsg sendmsg(MSG_DEALLOC_VGPRS)
	s_endpgm
	.section	.rodata,"a",@progbits
	.p2align	6, 0x0
	.amdhsa_kernel _Z6kernelI6reduceILN6hipcub20BlockReduceAlgorithmE2EEdLj64ELj3ELj100EEvPKT0_PS4_
		.amdhsa_group_segment_fixed_size 512
		.amdhsa_private_segment_fixed_size 0
		.amdhsa_kernarg_size 272
		.amdhsa_user_sgpr_count 15
		.amdhsa_user_sgpr_dispatch_ptr 0
		.amdhsa_user_sgpr_queue_ptr 0
		.amdhsa_user_sgpr_kernarg_segment_ptr 1
		.amdhsa_user_sgpr_dispatch_id 0
		.amdhsa_user_sgpr_private_segment_size 0
		.amdhsa_wavefront_size32 1
		.amdhsa_uses_dynamic_stack 0
		.amdhsa_enable_private_segment 0
		.amdhsa_system_sgpr_workgroup_id_x 1
		.amdhsa_system_sgpr_workgroup_id_y 0
		.amdhsa_system_sgpr_workgroup_id_z 0
		.amdhsa_system_sgpr_workgroup_info 0
		.amdhsa_system_vgpr_workitem_id 0
		.amdhsa_next_free_vgpr 11
		.amdhsa_next_free_sgpr 16
		.amdhsa_reserve_vcc 1
		.amdhsa_float_round_mode_32 0
		.amdhsa_float_round_mode_16_64 0
		.amdhsa_float_denorm_mode_32 3
		.amdhsa_float_denorm_mode_16_64 3
		.amdhsa_dx10_clamp 1
		.amdhsa_ieee_mode 1
		.amdhsa_fp16_overflow 0
		.amdhsa_workgroup_processor_mode 1
		.amdhsa_memory_ordered 1
		.amdhsa_forward_progress 0
		.amdhsa_shared_vgpr_count 0
		.amdhsa_exception_fp_ieee_invalid_op 0
		.amdhsa_exception_fp_denorm_src 0
		.amdhsa_exception_fp_ieee_div_zero 0
		.amdhsa_exception_fp_ieee_overflow 0
		.amdhsa_exception_fp_ieee_underflow 0
		.amdhsa_exception_fp_ieee_inexact 0
		.amdhsa_exception_int_div_zero 0
	.end_amdhsa_kernel
	.section	.text._Z6kernelI6reduceILN6hipcub20BlockReduceAlgorithmE2EEdLj64ELj3ELj100EEvPKT0_PS4_,"axG",@progbits,_Z6kernelI6reduceILN6hipcub20BlockReduceAlgorithmE2EEdLj64ELj3ELj100EEvPKT0_PS4_,comdat
.Lfunc_end156:
	.size	_Z6kernelI6reduceILN6hipcub20BlockReduceAlgorithmE2EEdLj64ELj3ELj100EEvPKT0_PS4_, .Lfunc_end156-_Z6kernelI6reduceILN6hipcub20BlockReduceAlgorithmE2EEdLj64ELj3ELj100EEvPKT0_PS4_
                                        ; -- End function
	.section	.AMDGPU.csdata,"",@progbits
; Kernel info:
; codeLenInByte = 488
; NumSgprs: 18
; NumVgprs: 11
; ScratchSize: 0
; MemoryBound: 0
; FloatMode: 240
; IeeeMode: 1
; LDSByteSize: 512 bytes/workgroup (compile time only)
; SGPRBlocks: 2
; VGPRBlocks: 1
; NumSGPRsForWavesPerEU: 18
; NumVGPRsForWavesPerEU: 11
; Occupancy: 16
; WaveLimiterHint : 0
; COMPUTE_PGM_RSRC2:SCRATCH_EN: 0
; COMPUTE_PGM_RSRC2:USER_SGPR: 15
; COMPUTE_PGM_RSRC2:TRAP_HANDLER: 0
; COMPUTE_PGM_RSRC2:TGID_X_EN: 1
; COMPUTE_PGM_RSRC2:TGID_Y_EN: 0
; COMPUTE_PGM_RSRC2:TGID_Z_EN: 0
; COMPUTE_PGM_RSRC2:TIDIG_COMP_CNT: 0
	.section	.text._Z6kernelI6reduceILN6hipcub20BlockReduceAlgorithmE2EEdLj64ELj4ELj100EEvPKT0_PS4_,"axG",@progbits,_Z6kernelI6reduceILN6hipcub20BlockReduceAlgorithmE2EEdLj64ELj4ELj100EEvPKT0_PS4_,comdat
	.protected	_Z6kernelI6reduceILN6hipcub20BlockReduceAlgorithmE2EEdLj64ELj4ELj100EEvPKT0_PS4_ ; -- Begin function _Z6kernelI6reduceILN6hipcub20BlockReduceAlgorithmE2EEdLj64ELj4ELj100EEvPKT0_PS4_
	.globl	_Z6kernelI6reduceILN6hipcub20BlockReduceAlgorithmE2EEdLj64ELj4ELj100EEvPKT0_PS4_
	.p2align	8
	.type	_Z6kernelI6reduceILN6hipcub20BlockReduceAlgorithmE2EEdLj64ELj4ELj100EEvPKT0_PS4_,@function
_Z6kernelI6reduceILN6hipcub20BlockReduceAlgorithmE2EEdLj64ELj4ELj100EEvPKT0_PS4_: ; @_Z6kernelI6reduceILN6hipcub20BlockReduceAlgorithmE2EEdLj64ELj4ELj100EEvPKT0_PS4_
; %bb.0:
	s_clause 0x1
	s_load_b32 s5, s[0:1], 0x1c
	s_load_b128 s[0:3], s[0:1], 0x0
	v_dual_mov_b32 v2, 0 :: v_dual_lshlrev_b32 v9, 2, v0
	v_mov_b32_e32 v10, 0x7c
	s_mov_b32 s4, s15
	s_waitcnt lgkmcnt(0)
	s_and_b32 s5, s5, 0xffff
	s_delay_alu instid0(SALU_CYCLE_1) | instskip(NEXT) | instid1(SALU_CYCLE_1)
	s_mul_i32 s5, s15, s5
	v_add_lshl_u32 v1, s5, v0, 2
	s_delay_alu instid0(VALU_DEP_1) | instskip(NEXT) | instid1(VALU_DEP_1)
	v_lshlrev_b64 v[1:2], 3, v[1:2]
	v_add_co_u32 v1, vcc_lo, s0, v1
	s_delay_alu instid0(VALU_DEP_2)
	v_add_co_ci_u32_e32 v2, vcc_lo, s1, v2, vcc_lo
	s_movk_i32 s0, 0x64
	s_clause 0x1
	global_load_b128 v[5:8], v[1:2], off offset:16
	global_load_b128 v[1:4], v[1:2], off
	s_set_inst_prefetch_distance 0x1
	.p2align	6
.LBB157_1:                              ; =>This Inner Loop Header: Depth=1
	s_waitcnt vmcnt(0) lgkmcnt(0)
	v_add_f64 v[1:2], v[1:2], v[3:4]
	s_barrier
	buffer_gl0_inv
	ds_load_2addr_b32 v[11:12], v9 offset0:32 offset1:96
	s_add_i32 s0, s0, -1
	s_delay_alu instid0(SALU_CYCLE_1) | instskip(SKIP_1) | instid1(VALU_DEP_1)
	s_cmp_eq_u32 s0, 0
	v_add_f64 v[1:2], v[5:6], v[1:2]
	v_add_f64 v[1:2], v[7:8], v[1:2]
	s_waitcnt lgkmcnt(0)
	s_delay_alu instid0(VALU_DEP_1) | instskip(NEXT) | instid1(VALU_DEP_1)
	v_add_f64 v[1:2], v[1:2], v[11:12]
	v_mov_b32_dpp v11, v1 quad_perm:[1,0,3,2] row_mask:0xf bank_mask:0xf
	s_delay_alu instid0(VALU_DEP_2) | instskip(NEXT) | instid1(VALU_DEP_1)
	v_mov_b32_dpp v12, v2 quad_perm:[1,0,3,2] row_mask:0xf bank_mask:0xf
	v_add_f64 v[1:2], v[1:2], v[11:12]
	s_delay_alu instid0(VALU_DEP_1) | instskip(NEXT) | instid1(VALU_DEP_2)
	v_mov_b32_dpp v11, v1 quad_perm:[2,3,0,1] row_mask:0xf bank_mask:0xf
	v_mov_b32_dpp v12, v2 quad_perm:[2,3,0,1] row_mask:0xf bank_mask:0xf
	s_delay_alu instid0(VALU_DEP_1) | instskip(NEXT) | instid1(VALU_DEP_1)
	v_add_f64 v[1:2], v[1:2], v[11:12]
	v_mov_b32_dpp v11, v1 row_ror:4 row_mask:0xf bank_mask:0xf
	s_delay_alu instid0(VALU_DEP_2) | instskip(NEXT) | instid1(VALU_DEP_1)
	v_mov_b32_dpp v12, v2 row_ror:4 row_mask:0xf bank_mask:0xf
	v_add_f64 v[1:2], v[1:2], v[11:12]
	s_delay_alu instid0(VALU_DEP_1) | instskip(NEXT) | instid1(VALU_DEP_2)
	v_mov_b32_dpp v11, v1 row_ror:8 row_mask:0xf bank_mask:0xf
	v_mov_b32_dpp v12, v2 row_ror:8 row_mask:0xf bank_mask:0xf
	s_delay_alu instid0(VALU_DEP_1)
	v_add_f64 v[1:2], v[1:2], v[11:12]
	ds_swizzle_b32 v11, v1 offset:swizzle(BROADCAST,32,15)
	ds_swizzle_b32 v12, v2 offset:swizzle(BROADCAST,32,15)
	s_waitcnt lgkmcnt(0)
	v_add_f64 v[1:2], v[1:2], v[11:12]
	ds_bpermute_b32 v1, v10, v1
	ds_bpermute_b32 v2, v10, v2
	s_cbranch_scc0 .LBB157_1
; %bb.2:
	s_set_inst_prefetch_distance 0x2
	s_mov_b32 s5, 0
	s_mov_b32 s0, exec_lo
	v_cmpx_eq_u32_e32 0, v0
	s_cbranch_execz .LBB157_4
; %bb.3:
	s_lshl_b64 s[0:1], s[4:5], 3
	v_mov_b32_e32 v0, 0
	s_add_u32 s0, s2, s0
	s_addc_u32 s1, s3, s1
	s_waitcnt lgkmcnt(0)
	global_store_b64 v0, v[1:2], s[0:1]
.LBB157_4:
	s_nop 0
	s_sendmsg sendmsg(MSG_DEALLOC_VGPRS)
	s_endpgm
	.section	.rodata,"a",@progbits
	.p2align	6, 0x0
	.amdhsa_kernel _Z6kernelI6reduceILN6hipcub20BlockReduceAlgorithmE2EEdLj64ELj4ELj100EEvPKT0_PS4_
		.amdhsa_group_segment_fixed_size 512
		.amdhsa_private_segment_fixed_size 0
		.amdhsa_kernarg_size 272
		.amdhsa_user_sgpr_count 15
		.amdhsa_user_sgpr_dispatch_ptr 0
		.amdhsa_user_sgpr_queue_ptr 0
		.amdhsa_user_sgpr_kernarg_segment_ptr 1
		.amdhsa_user_sgpr_dispatch_id 0
		.amdhsa_user_sgpr_private_segment_size 0
		.amdhsa_wavefront_size32 1
		.amdhsa_uses_dynamic_stack 0
		.amdhsa_enable_private_segment 0
		.amdhsa_system_sgpr_workgroup_id_x 1
		.amdhsa_system_sgpr_workgroup_id_y 0
		.amdhsa_system_sgpr_workgroup_id_z 0
		.amdhsa_system_sgpr_workgroup_info 0
		.amdhsa_system_vgpr_workitem_id 0
		.amdhsa_next_free_vgpr 13
		.amdhsa_next_free_sgpr 16
		.amdhsa_reserve_vcc 1
		.amdhsa_float_round_mode_32 0
		.amdhsa_float_round_mode_16_64 0
		.amdhsa_float_denorm_mode_32 3
		.amdhsa_float_denorm_mode_16_64 3
		.amdhsa_dx10_clamp 1
		.amdhsa_ieee_mode 1
		.amdhsa_fp16_overflow 0
		.amdhsa_workgroup_processor_mode 1
		.amdhsa_memory_ordered 1
		.amdhsa_forward_progress 0
		.amdhsa_shared_vgpr_count 0
		.amdhsa_exception_fp_ieee_invalid_op 0
		.amdhsa_exception_fp_denorm_src 0
		.amdhsa_exception_fp_ieee_div_zero 0
		.amdhsa_exception_fp_ieee_overflow 0
		.amdhsa_exception_fp_ieee_underflow 0
		.amdhsa_exception_fp_ieee_inexact 0
		.amdhsa_exception_int_div_zero 0
	.end_amdhsa_kernel
	.section	.text._Z6kernelI6reduceILN6hipcub20BlockReduceAlgorithmE2EEdLj64ELj4ELj100EEvPKT0_PS4_,"axG",@progbits,_Z6kernelI6reduceILN6hipcub20BlockReduceAlgorithmE2EEdLj64ELj4ELj100EEvPKT0_PS4_,comdat
.Lfunc_end157:
	.size	_Z6kernelI6reduceILN6hipcub20BlockReduceAlgorithmE2EEdLj64ELj4ELj100EEvPKT0_PS4_, .Lfunc_end157-_Z6kernelI6reduceILN6hipcub20BlockReduceAlgorithmE2EEdLj64ELj4ELj100EEvPKT0_PS4_
                                        ; -- End function
	.section	.AMDGPU.csdata,"",@progbits
; Kernel info:
; codeLenInByte = 428
; NumSgprs: 18
; NumVgprs: 13
; ScratchSize: 0
; MemoryBound: 0
; FloatMode: 240
; IeeeMode: 1
; LDSByteSize: 512 bytes/workgroup (compile time only)
; SGPRBlocks: 2
; VGPRBlocks: 1
; NumSGPRsForWavesPerEU: 18
; NumVGPRsForWavesPerEU: 13
; Occupancy: 16
; WaveLimiterHint : 0
; COMPUTE_PGM_RSRC2:SCRATCH_EN: 0
; COMPUTE_PGM_RSRC2:USER_SGPR: 15
; COMPUTE_PGM_RSRC2:TRAP_HANDLER: 0
; COMPUTE_PGM_RSRC2:TGID_X_EN: 1
; COMPUTE_PGM_RSRC2:TGID_Y_EN: 0
; COMPUTE_PGM_RSRC2:TGID_Z_EN: 0
; COMPUTE_PGM_RSRC2:TIDIG_COMP_CNT: 0
	.section	.text._Z6kernelI6reduceILN6hipcub20BlockReduceAlgorithmE2EEdLj64ELj8ELj100EEvPKT0_PS4_,"axG",@progbits,_Z6kernelI6reduceILN6hipcub20BlockReduceAlgorithmE2EEdLj64ELj8ELj100EEvPKT0_PS4_,comdat
	.protected	_Z6kernelI6reduceILN6hipcub20BlockReduceAlgorithmE2EEdLj64ELj8ELj100EEvPKT0_PS4_ ; -- Begin function _Z6kernelI6reduceILN6hipcub20BlockReduceAlgorithmE2EEdLj64ELj8ELj100EEvPKT0_PS4_
	.globl	_Z6kernelI6reduceILN6hipcub20BlockReduceAlgorithmE2EEdLj64ELj8ELj100EEvPKT0_PS4_
	.p2align	8
	.type	_Z6kernelI6reduceILN6hipcub20BlockReduceAlgorithmE2EEdLj64ELj8ELj100EEvPKT0_PS4_,@function
_Z6kernelI6reduceILN6hipcub20BlockReduceAlgorithmE2EEdLj64ELj8ELj100EEvPKT0_PS4_: ; @_Z6kernelI6reduceILN6hipcub20BlockReduceAlgorithmE2EEdLj64ELj8ELj100EEvPKT0_PS4_
; %bb.0:
	s_clause 0x1
	s_load_b32 s5, s[0:1], 0x1c
	s_load_b128 s[0:3], s[0:1], 0x0
	v_dual_mov_b32 v2, 0 :: v_dual_lshlrev_b32 v17, 2, v0
	v_mov_b32_e32 v18, 0x7c
	s_mov_b32 s4, s15
	s_waitcnt lgkmcnt(0)
	s_and_b32 s5, s5, 0xffff
	s_delay_alu instid0(SALU_CYCLE_1) | instskip(NEXT) | instid1(SALU_CYCLE_1)
	s_mul_i32 s5, s15, s5
	v_add_lshl_u32 v1, s5, v0, 3
	s_delay_alu instid0(VALU_DEP_1) | instskip(NEXT) | instid1(VALU_DEP_1)
	v_lshlrev_b64 v[1:2], 3, v[1:2]
	v_add_co_u32 v1, vcc_lo, s0, v1
	s_delay_alu instid0(VALU_DEP_2)
	v_add_co_ci_u32_e32 v2, vcc_lo, s1, v2, vcc_lo
	s_movk_i32 s0, 0x64
	s_clause 0x3
	global_load_b128 v[5:8], v[1:2], off offset:48
	global_load_b128 v[9:12], v[1:2], off offset:32
	;; [unrolled: 1-line block ×3, first 2 shown]
	global_load_b128 v[1:4], v[1:2], off
.LBB158_1:                              ; =>This Inner Loop Header: Depth=1
	s_waitcnt vmcnt(0) lgkmcnt(0)
	v_add_f64 v[1:2], v[3:4], v[1:2]
	s_barrier
	buffer_gl0_inv
	ds_load_2addr_b32 v[19:20], v17 offset0:32 offset1:96
	s_add_i32 s0, s0, -1
	s_delay_alu instid0(SALU_CYCLE_1) | instskip(SKIP_1) | instid1(VALU_DEP_1)
	s_cmp_eq_u32 s0, 0
	v_add_f64 v[1:2], v[13:14], v[1:2]
	v_add_f64 v[1:2], v[15:16], v[1:2]
	s_delay_alu instid0(VALU_DEP_1) | instskip(NEXT) | instid1(VALU_DEP_1)
	v_add_f64 v[1:2], v[9:10], v[1:2]
	v_add_f64 v[1:2], v[11:12], v[1:2]
	s_delay_alu instid0(VALU_DEP_1) | instskip(NEXT) | instid1(VALU_DEP_1)
	v_add_f64 v[1:2], v[5:6], v[1:2]
	v_add_f64 v[1:2], v[7:8], v[1:2]
	s_waitcnt lgkmcnt(0)
	s_delay_alu instid0(VALU_DEP_1) | instskip(NEXT) | instid1(VALU_DEP_1)
	v_add_f64 v[1:2], v[1:2], v[19:20]
	v_mov_b32_dpp v19, v1 quad_perm:[1,0,3,2] row_mask:0xf bank_mask:0xf
	s_delay_alu instid0(VALU_DEP_2) | instskip(NEXT) | instid1(VALU_DEP_1)
	v_mov_b32_dpp v20, v2 quad_perm:[1,0,3,2] row_mask:0xf bank_mask:0xf
	v_add_f64 v[1:2], v[1:2], v[19:20]
	s_delay_alu instid0(VALU_DEP_1) | instskip(NEXT) | instid1(VALU_DEP_2)
	v_mov_b32_dpp v19, v1 quad_perm:[2,3,0,1] row_mask:0xf bank_mask:0xf
	v_mov_b32_dpp v20, v2 quad_perm:[2,3,0,1] row_mask:0xf bank_mask:0xf
	s_delay_alu instid0(VALU_DEP_1) | instskip(NEXT) | instid1(VALU_DEP_1)
	v_add_f64 v[1:2], v[1:2], v[19:20]
	v_mov_b32_dpp v19, v1 row_ror:4 row_mask:0xf bank_mask:0xf
	s_delay_alu instid0(VALU_DEP_2) | instskip(NEXT) | instid1(VALU_DEP_1)
	v_mov_b32_dpp v20, v2 row_ror:4 row_mask:0xf bank_mask:0xf
	v_add_f64 v[1:2], v[1:2], v[19:20]
	s_delay_alu instid0(VALU_DEP_1) | instskip(NEXT) | instid1(VALU_DEP_2)
	v_mov_b32_dpp v19, v1 row_ror:8 row_mask:0xf bank_mask:0xf
	v_mov_b32_dpp v20, v2 row_ror:8 row_mask:0xf bank_mask:0xf
	s_delay_alu instid0(VALU_DEP_1)
	v_add_f64 v[1:2], v[1:2], v[19:20]
	ds_swizzle_b32 v19, v1 offset:swizzle(BROADCAST,32,15)
	ds_swizzle_b32 v20, v2 offset:swizzle(BROADCAST,32,15)
	s_waitcnt lgkmcnt(0)
	v_add_f64 v[1:2], v[1:2], v[19:20]
	ds_bpermute_b32 v1, v18, v1
	ds_bpermute_b32 v2, v18, v2
	s_cbranch_scc0 .LBB158_1
; %bb.2:
	s_mov_b32 s5, 0
	s_mov_b32 s0, exec_lo
	v_cmpx_eq_u32_e32 0, v0
	s_cbranch_execz .LBB158_4
; %bb.3:
	s_lshl_b64 s[0:1], s[4:5], 3
	v_mov_b32_e32 v0, 0
	s_add_u32 s0, s2, s0
	s_addc_u32 s1, s3, s1
	s_waitcnt lgkmcnt(0)
	global_store_b64 v0, v[1:2], s[0:1]
.LBB158_4:
	s_nop 0
	s_sendmsg sendmsg(MSG_DEALLOC_VGPRS)
	s_endpgm
	.section	.rodata,"a",@progbits
	.p2align	6, 0x0
	.amdhsa_kernel _Z6kernelI6reduceILN6hipcub20BlockReduceAlgorithmE2EEdLj64ELj8ELj100EEvPKT0_PS4_
		.amdhsa_group_segment_fixed_size 512
		.amdhsa_private_segment_fixed_size 0
		.amdhsa_kernarg_size 272
		.amdhsa_user_sgpr_count 15
		.amdhsa_user_sgpr_dispatch_ptr 0
		.amdhsa_user_sgpr_queue_ptr 0
		.amdhsa_user_sgpr_kernarg_segment_ptr 1
		.amdhsa_user_sgpr_dispatch_id 0
		.amdhsa_user_sgpr_private_segment_size 0
		.amdhsa_wavefront_size32 1
		.amdhsa_uses_dynamic_stack 0
		.amdhsa_enable_private_segment 0
		.amdhsa_system_sgpr_workgroup_id_x 1
		.amdhsa_system_sgpr_workgroup_id_y 0
		.amdhsa_system_sgpr_workgroup_id_z 0
		.amdhsa_system_sgpr_workgroup_info 0
		.amdhsa_system_vgpr_workitem_id 0
		.amdhsa_next_free_vgpr 21
		.amdhsa_next_free_sgpr 16
		.amdhsa_reserve_vcc 1
		.amdhsa_float_round_mode_32 0
		.amdhsa_float_round_mode_16_64 0
		.amdhsa_float_denorm_mode_32 3
		.amdhsa_float_denorm_mode_16_64 3
		.amdhsa_dx10_clamp 1
		.amdhsa_ieee_mode 1
		.amdhsa_fp16_overflow 0
		.amdhsa_workgroup_processor_mode 1
		.amdhsa_memory_ordered 1
		.amdhsa_forward_progress 0
		.amdhsa_shared_vgpr_count 0
		.amdhsa_exception_fp_ieee_invalid_op 0
		.amdhsa_exception_fp_denorm_src 0
		.amdhsa_exception_fp_ieee_div_zero 0
		.amdhsa_exception_fp_ieee_overflow 0
		.amdhsa_exception_fp_ieee_underflow 0
		.amdhsa_exception_fp_ieee_inexact 0
		.amdhsa_exception_int_div_zero 0
	.end_amdhsa_kernel
	.section	.text._Z6kernelI6reduceILN6hipcub20BlockReduceAlgorithmE2EEdLj64ELj8ELj100EEvPKT0_PS4_,"axG",@progbits,_Z6kernelI6reduceILN6hipcub20BlockReduceAlgorithmE2EEdLj64ELj8ELj100EEvPKT0_PS4_,comdat
.Lfunc_end158:
	.size	_Z6kernelI6reduceILN6hipcub20BlockReduceAlgorithmE2EEdLj64ELj8ELj100EEvPKT0_PS4_, .Lfunc_end158-_Z6kernelI6reduceILN6hipcub20BlockReduceAlgorithmE2EEdLj64ELj8ELj100EEvPKT0_PS4_
                                        ; -- End function
	.section	.AMDGPU.csdata,"",@progbits
; Kernel info:
; codeLenInByte = 476
; NumSgprs: 18
; NumVgprs: 21
; ScratchSize: 0
; MemoryBound: 1
; FloatMode: 240
; IeeeMode: 1
; LDSByteSize: 512 bytes/workgroup (compile time only)
; SGPRBlocks: 2
; VGPRBlocks: 2
; NumSGPRsForWavesPerEU: 18
; NumVGPRsForWavesPerEU: 21
; Occupancy: 16
; WaveLimiterHint : 0
; COMPUTE_PGM_RSRC2:SCRATCH_EN: 0
; COMPUTE_PGM_RSRC2:USER_SGPR: 15
; COMPUTE_PGM_RSRC2:TRAP_HANDLER: 0
; COMPUTE_PGM_RSRC2:TGID_X_EN: 1
; COMPUTE_PGM_RSRC2:TGID_Y_EN: 0
; COMPUTE_PGM_RSRC2:TGID_Z_EN: 0
; COMPUTE_PGM_RSRC2:TIDIG_COMP_CNT: 0
	.section	.text._Z6kernelI6reduceILN6hipcub20BlockReduceAlgorithmE2EEdLj64ELj11ELj100EEvPKT0_PS4_,"axG",@progbits,_Z6kernelI6reduceILN6hipcub20BlockReduceAlgorithmE2EEdLj64ELj11ELj100EEvPKT0_PS4_,comdat
	.protected	_Z6kernelI6reduceILN6hipcub20BlockReduceAlgorithmE2EEdLj64ELj11ELj100EEvPKT0_PS4_ ; -- Begin function _Z6kernelI6reduceILN6hipcub20BlockReduceAlgorithmE2EEdLj64ELj11ELj100EEvPKT0_PS4_
	.globl	_Z6kernelI6reduceILN6hipcub20BlockReduceAlgorithmE2EEdLj64ELj11ELj100EEvPKT0_PS4_
	.p2align	8
	.type	_Z6kernelI6reduceILN6hipcub20BlockReduceAlgorithmE2EEdLj64ELj11ELj100EEvPKT0_PS4_,@function
_Z6kernelI6reduceILN6hipcub20BlockReduceAlgorithmE2EEdLj64ELj11ELj100EEvPKT0_PS4_: ; @_Z6kernelI6reduceILN6hipcub20BlockReduceAlgorithmE2EEdLj64ELj11ELj100EEvPKT0_PS4_
; %bb.0:
	s_load_b32 s2, s[0:1], 0x1c
	s_mov_b32 s4, s15
	s_waitcnt lgkmcnt(0)
	s_and_b32 s2, s2, 0xffff
	s_delay_alu instid0(SALU_CYCLE_1) | instskip(SKIP_1) | instid1(VALU_DEP_1)
	v_mad_u64_u32 v[1:2], null, s4, s2, v[0:1]
	s_load_b128 s[0:3], s[0:1], 0x0
	v_mul_lo_u32 v9, v1, 11
	s_delay_alu instid0(VALU_DEP_1) | instskip(NEXT) | instid1(VALU_DEP_1)
	v_dual_mov_b32 v10, 0 :: v_dual_add_nc_u32 v1, 1, v9
	v_dual_mov_b32 v2, v10 :: v_dual_add_nc_u32 v3, 2, v9
	v_lshlrev_b64 v[17:18], 3, v[9:10]
	v_dual_mov_b32 v4, v10 :: v_dual_add_nc_u32 v5, 3, v9
	s_delay_alu instid0(VALU_DEP_3) | instskip(SKIP_1) | instid1(VALU_DEP_3)
	v_lshlrev_b64 v[1:2], 3, v[1:2]
	v_dual_mov_b32 v6, v10 :: v_dual_add_nc_u32 v7, 4, v9
	v_lshlrev_b64 v[3:4], 3, v[3:4]
	s_waitcnt lgkmcnt(0)
	v_add_co_u32 v17, vcc_lo, s0, v17
	v_dual_mov_b32 v8, v10 :: v_dual_add_nc_u32 v11, 5, v9
	v_add_co_ci_u32_e32 v18, vcc_lo, s1, v18, vcc_lo
	v_lshlrev_b64 v[5:6], 3, v[5:6]
	v_add_co_u32 v1, vcc_lo, s0, v1
	v_dual_mov_b32 v12, v10 :: v_dual_add_nc_u32 v13, 6, v9
	v_add_co_ci_u32_e32 v2, vcc_lo, s1, v2, vcc_lo
	v_lshlrev_b64 v[7:8], 3, v[7:8]
	v_add_co_u32 v3, vcc_lo, s0, v3
	v_dual_mov_b32 v14, v10 :: v_dual_add_nc_u32 v15, 7, v9
	v_add_co_ci_u32_e32 v4, vcc_lo, s1, v4, vcc_lo
	v_add_co_u32 v5, vcc_lo, s0, v5
	v_lshlrev_b64 v[11:12], 3, v[11:12]
	v_mov_b32_e32 v16, v10
	v_add_co_ci_u32_e32 v6, vcc_lo, s1, v6, vcc_lo
	v_add_co_u32 v19, vcc_lo, s0, v7
	v_lshlrev_b64 v[13:14], 3, v[13:14]
	v_add_co_ci_u32_e32 v20, vcc_lo, s1, v8, vcc_lo
	s_clause 0x3
	global_load_b64 v[7:8], v[17:18], off
	global_load_b64 v[1:2], v[1:2], off
	;; [unrolled: 1-line block ×4, first 2 shown]
	v_dual_mov_b32 v18, v10 :: v_dual_add_nc_u32 v17, 8, v9
	v_add_nc_u32_e32 v21, 9, v9
	v_add_co_u32 v11, vcc_lo, s0, v11
	v_lshlrev_b64 v[15:16], 3, v[15:16]
	v_dual_mov_b32 v22, v10 :: v_dual_add_nc_u32 v9, 10, v9
	v_add_co_ci_u32_e32 v12, vcc_lo, s1, v12, vcc_lo
	v_add_co_u32 v13, vcc_lo, s0, v13
	v_lshlrev_b64 v[17:18], 3, v[17:18]
	v_add_co_ci_u32_e32 v14, vcc_lo, s1, v14, vcc_lo
	v_add_co_u32 v15, vcc_lo, s0, v15
	v_lshlrev_b64 v[21:22], 3, v[21:22]
	;; [unrolled: 3-line block ×3, first 2 shown]
	v_add_co_ci_u32_e32 v18, vcc_lo, s1, v18, vcc_lo
	v_add_co_u32 v21, vcc_lo, s0, v21
	v_add_co_ci_u32_e32 v22, vcc_lo, s1, v22, vcc_lo
	s_delay_alu instid0(VALU_DEP_4)
	v_add_co_u32 v23, vcc_lo, s0, v9
	v_add_co_ci_u32_e32 v24, vcc_lo, s1, v10, vcc_lo
	s_clause 0x6
	global_load_b64 v[9:10], v[19:20], off
	global_load_b64 v[11:12], v[11:12], off
	;; [unrolled: 1-line block ×7, first 2 shown]
	v_dual_mov_b32 v24, 0x7c :: v_dual_lshlrev_b32 v23, 2, v0
	s_movk_i32 s0, 0x64
.LBB159_1:                              ; =>This Inner Loop Header: Depth=1
	s_waitcnt vmcnt(9) lgkmcnt(0)
	v_add_f64 v[7:8], v[1:2], v[7:8]
	s_waitcnt vmcnt(0)
	s_barrier
	buffer_gl0_inv
	ds_load_2addr_b32 v[25:26], v23 offset0:32 offset1:96
	s_add_i32 s0, s0, -1
	s_delay_alu instid0(SALU_CYCLE_1) | instskip(SKIP_1) | instid1(VALU_DEP_1)
	s_cmp_eq_u32 s0, 0
	v_add_f64 v[7:8], v[3:4], v[7:8]
	v_add_f64 v[7:8], v[5:6], v[7:8]
	s_delay_alu instid0(VALU_DEP_1) | instskip(NEXT) | instid1(VALU_DEP_1)
	v_add_f64 v[7:8], v[9:10], v[7:8]
	v_add_f64 v[7:8], v[11:12], v[7:8]
	s_delay_alu instid0(VALU_DEP_1) | instskip(NEXT) | instid1(VALU_DEP_1)
	;; [unrolled: 3-line block ×3, first 2 shown]
	v_add_f64 v[7:8], v[17:18], v[7:8]
	v_add_f64 v[7:8], v[19:20], v[7:8]
	s_delay_alu instid0(VALU_DEP_1) | instskip(SKIP_1) | instid1(VALU_DEP_1)
	v_add_f64 v[7:8], v[21:22], v[7:8]
	s_waitcnt lgkmcnt(0)
	v_add_f64 v[7:8], v[7:8], v[25:26]
	s_delay_alu instid0(VALU_DEP_1) | instskip(NEXT) | instid1(VALU_DEP_2)
	v_mov_b32_dpp v25, v7 quad_perm:[1,0,3,2] row_mask:0xf bank_mask:0xf
	v_mov_b32_dpp v26, v8 quad_perm:[1,0,3,2] row_mask:0xf bank_mask:0xf
	s_delay_alu instid0(VALU_DEP_1) | instskip(NEXT) | instid1(VALU_DEP_1)
	v_add_f64 v[7:8], v[7:8], v[25:26]
	v_mov_b32_dpp v25, v7 quad_perm:[2,3,0,1] row_mask:0xf bank_mask:0xf
	s_delay_alu instid0(VALU_DEP_2) | instskip(NEXT) | instid1(VALU_DEP_1)
	v_mov_b32_dpp v26, v8 quad_perm:[2,3,0,1] row_mask:0xf bank_mask:0xf
	v_add_f64 v[7:8], v[7:8], v[25:26]
	s_delay_alu instid0(VALU_DEP_1) | instskip(NEXT) | instid1(VALU_DEP_2)
	v_mov_b32_dpp v25, v7 row_ror:4 row_mask:0xf bank_mask:0xf
	v_mov_b32_dpp v26, v8 row_ror:4 row_mask:0xf bank_mask:0xf
	s_delay_alu instid0(VALU_DEP_1) | instskip(NEXT) | instid1(VALU_DEP_1)
	v_add_f64 v[7:8], v[7:8], v[25:26]
	v_mov_b32_dpp v25, v7 row_ror:8 row_mask:0xf bank_mask:0xf
	s_delay_alu instid0(VALU_DEP_2) | instskip(NEXT) | instid1(VALU_DEP_1)
	v_mov_b32_dpp v26, v8 row_ror:8 row_mask:0xf bank_mask:0xf
	v_add_f64 v[7:8], v[7:8], v[25:26]
	ds_swizzle_b32 v25, v7 offset:swizzle(BROADCAST,32,15)
	ds_swizzle_b32 v26, v8 offset:swizzle(BROADCAST,32,15)
	s_waitcnt lgkmcnt(0)
	v_add_f64 v[7:8], v[7:8], v[25:26]
	ds_bpermute_b32 v7, v24, v7
	ds_bpermute_b32 v8, v24, v8
	s_cbranch_scc0 .LBB159_1
; %bb.2:
	s_mov_b32 s5, 0
	s_mov_b32 s0, exec_lo
	v_cmpx_eq_u32_e32 0, v0
	s_cbranch_execz .LBB159_4
; %bb.3:
	s_lshl_b64 s[0:1], s[4:5], 3
	v_mov_b32_e32 v0, 0
	s_add_u32 s0, s2, s0
	s_addc_u32 s1, s3, s1
	s_waitcnt lgkmcnt(0)
	global_store_b64 v0, v[7:8], s[0:1]
.LBB159_4:
	s_nop 0
	s_sendmsg sendmsg(MSG_DEALLOC_VGPRS)
	s_endpgm
	.section	.rodata,"a",@progbits
	.p2align	6, 0x0
	.amdhsa_kernel _Z6kernelI6reduceILN6hipcub20BlockReduceAlgorithmE2EEdLj64ELj11ELj100EEvPKT0_PS4_
		.amdhsa_group_segment_fixed_size 512
		.amdhsa_private_segment_fixed_size 0
		.amdhsa_kernarg_size 272
		.amdhsa_user_sgpr_count 15
		.amdhsa_user_sgpr_dispatch_ptr 0
		.amdhsa_user_sgpr_queue_ptr 0
		.amdhsa_user_sgpr_kernarg_segment_ptr 1
		.amdhsa_user_sgpr_dispatch_id 0
		.amdhsa_user_sgpr_private_segment_size 0
		.amdhsa_wavefront_size32 1
		.amdhsa_uses_dynamic_stack 0
		.amdhsa_enable_private_segment 0
		.amdhsa_system_sgpr_workgroup_id_x 1
		.amdhsa_system_sgpr_workgroup_id_y 0
		.amdhsa_system_sgpr_workgroup_id_z 0
		.amdhsa_system_sgpr_workgroup_info 0
		.amdhsa_system_vgpr_workitem_id 0
		.amdhsa_next_free_vgpr 27
		.amdhsa_next_free_sgpr 16
		.amdhsa_reserve_vcc 1
		.amdhsa_float_round_mode_32 0
		.amdhsa_float_round_mode_16_64 0
		.amdhsa_float_denorm_mode_32 3
		.amdhsa_float_denorm_mode_16_64 3
		.amdhsa_dx10_clamp 1
		.amdhsa_ieee_mode 1
		.amdhsa_fp16_overflow 0
		.amdhsa_workgroup_processor_mode 1
		.amdhsa_memory_ordered 1
		.amdhsa_forward_progress 0
		.amdhsa_shared_vgpr_count 0
		.amdhsa_exception_fp_ieee_invalid_op 0
		.amdhsa_exception_fp_denorm_src 0
		.amdhsa_exception_fp_ieee_div_zero 0
		.amdhsa_exception_fp_ieee_overflow 0
		.amdhsa_exception_fp_ieee_underflow 0
		.amdhsa_exception_fp_ieee_inexact 0
		.amdhsa_exception_int_div_zero 0
	.end_amdhsa_kernel
	.section	.text._Z6kernelI6reduceILN6hipcub20BlockReduceAlgorithmE2EEdLj64ELj11ELj100EEvPKT0_PS4_,"axG",@progbits,_Z6kernelI6reduceILN6hipcub20BlockReduceAlgorithmE2EEdLj64ELj11ELj100EEvPKT0_PS4_,comdat
.Lfunc_end159:
	.size	_Z6kernelI6reduceILN6hipcub20BlockReduceAlgorithmE2EEdLj64ELj11ELj100EEvPKT0_PS4_, .Lfunc_end159-_Z6kernelI6reduceILN6hipcub20BlockReduceAlgorithmE2EEdLj64ELj11ELj100EEvPKT0_PS4_
                                        ; -- End function
	.section	.AMDGPU.csdata,"",@progbits
; Kernel info:
; codeLenInByte = 852
; NumSgprs: 18
; NumVgprs: 27
; ScratchSize: 0
; MemoryBound: 0
; FloatMode: 240
; IeeeMode: 1
; LDSByteSize: 512 bytes/workgroup (compile time only)
; SGPRBlocks: 2
; VGPRBlocks: 3
; NumSGPRsForWavesPerEU: 18
; NumVGPRsForWavesPerEU: 27
; Occupancy: 16
; WaveLimiterHint : 0
; COMPUTE_PGM_RSRC2:SCRATCH_EN: 0
; COMPUTE_PGM_RSRC2:USER_SGPR: 15
; COMPUTE_PGM_RSRC2:TRAP_HANDLER: 0
; COMPUTE_PGM_RSRC2:TGID_X_EN: 1
; COMPUTE_PGM_RSRC2:TGID_Y_EN: 0
; COMPUTE_PGM_RSRC2:TGID_Z_EN: 0
; COMPUTE_PGM_RSRC2:TIDIG_COMP_CNT: 0
	.section	.text._Z6kernelI6reduceILN6hipcub20BlockReduceAlgorithmE2EEdLj64ELj16ELj100EEvPKT0_PS4_,"axG",@progbits,_Z6kernelI6reduceILN6hipcub20BlockReduceAlgorithmE2EEdLj64ELj16ELj100EEvPKT0_PS4_,comdat
	.protected	_Z6kernelI6reduceILN6hipcub20BlockReduceAlgorithmE2EEdLj64ELj16ELj100EEvPKT0_PS4_ ; -- Begin function _Z6kernelI6reduceILN6hipcub20BlockReduceAlgorithmE2EEdLj64ELj16ELj100EEvPKT0_PS4_
	.globl	_Z6kernelI6reduceILN6hipcub20BlockReduceAlgorithmE2EEdLj64ELj16ELj100EEvPKT0_PS4_
	.p2align	8
	.type	_Z6kernelI6reduceILN6hipcub20BlockReduceAlgorithmE2EEdLj64ELj16ELj100EEvPKT0_PS4_,@function
_Z6kernelI6reduceILN6hipcub20BlockReduceAlgorithmE2EEdLj64ELj16ELj100EEvPKT0_PS4_: ; @_Z6kernelI6reduceILN6hipcub20BlockReduceAlgorithmE2EEdLj64ELj16ELj100EEvPKT0_PS4_
; %bb.0:
	s_clause 0x1
	s_load_b32 s5, s[0:1], 0x1c
	s_load_b128 s[0:3], s[0:1], 0x0
	v_dual_mov_b32 v2, 0 :: v_dual_lshlrev_b32 v33, 2, v0
	v_mov_b32_e32 v34, 0x7c
	s_mov_b32 s4, s15
	s_waitcnt lgkmcnt(0)
	s_and_b32 s5, s5, 0xffff
	s_delay_alu instid0(SALU_CYCLE_1) | instskip(NEXT) | instid1(SALU_CYCLE_1)
	s_mul_i32 s5, s15, s5
	v_add_lshl_u32 v1, s5, v0, 4
	s_delay_alu instid0(VALU_DEP_1) | instskip(NEXT) | instid1(VALU_DEP_1)
	v_lshlrev_b64 v[1:2], 3, v[1:2]
	v_add_co_u32 v29, vcc_lo, s0, v1
	s_delay_alu instid0(VALU_DEP_2)
	v_add_co_ci_u32_e32 v30, vcc_lo, s1, v2, vcc_lo
	s_movk_i32 s0, 0x64
	s_clause 0x7
	global_load_b128 v[5:8], v[29:30], off offset:48
	global_load_b128 v[9:12], v[29:30], off offset:32
	global_load_b128 v[13:16], v[29:30], off offset:16
	global_load_b128 v[1:4], v[29:30], off
	global_load_b128 v[17:20], v[29:30], off offset:112
	global_load_b128 v[21:24], v[29:30], off offset:96
	;; [unrolled: 1-line block ×4, first 2 shown]
.LBB160_1:                              ; =>This Inner Loop Header: Depth=1
	s_waitcnt vmcnt(4) lgkmcnt(0)
	v_add_f64 v[1:2], v[3:4], v[1:2]
	s_waitcnt vmcnt(0)
	s_barrier
	buffer_gl0_inv
	ds_load_2addr_b32 v[35:36], v33 offset0:32 offset1:96
	s_add_i32 s0, s0, -1
	s_delay_alu instid0(SALU_CYCLE_1) | instskip(SKIP_1) | instid1(VALU_DEP_1)
	s_cmp_eq_u32 s0, 0
	v_add_f64 v[1:2], v[13:14], v[1:2]
	v_add_f64 v[1:2], v[15:16], v[1:2]
	s_delay_alu instid0(VALU_DEP_1) | instskip(NEXT) | instid1(VALU_DEP_1)
	v_add_f64 v[1:2], v[9:10], v[1:2]
	v_add_f64 v[1:2], v[11:12], v[1:2]
	s_delay_alu instid0(VALU_DEP_1) | instskip(NEXT) | instid1(VALU_DEP_1)
	;; [unrolled: 3-line block ×6, first 2 shown]
	v_add_f64 v[1:2], v[17:18], v[1:2]
	v_add_f64 v[1:2], v[19:20], v[1:2]
	s_waitcnt lgkmcnt(0)
	s_delay_alu instid0(VALU_DEP_1) | instskip(NEXT) | instid1(VALU_DEP_1)
	v_add_f64 v[1:2], v[1:2], v[35:36]
	v_mov_b32_dpp v35, v1 quad_perm:[1,0,3,2] row_mask:0xf bank_mask:0xf
	s_delay_alu instid0(VALU_DEP_2) | instskip(NEXT) | instid1(VALU_DEP_1)
	v_mov_b32_dpp v36, v2 quad_perm:[1,0,3,2] row_mask:0xf bank_mask:0xf
	v_add_f64 v[1:2], v[1:2], v[35:36]
	s_delay_alu instid0(VALU_DEP_1) | instskip(NEXT) | instid1(VALU_DEP_2)
	v_mov_b32_dpp v35, v1 quad_perm:[2,3,0,1] row_mask:0xf bank_mask:0xf
	v_mov_b32_dpp v36, v2 quad_perm:[2,3,0,1] row_mask:0xf bank_mask:0xf
	s_delay_alu instid0(VALU_DEP_1) | instskip(NEXT) | instid1(VALU_DEP_1)
	v_add_f64 v[1:2], v[1:2], v[35:36]
	v_mov_b32_dpp v35, v1 row_ror:4 row_mask:0xf bank_mask:0xf
	s_delay_alu instid0(VALU_DEP_2) | instskip(NEXT) | instid1(VALU_DEP_1)
	v_mov_b32_dpp v36, v2 row_ror:4 row_mask:0xf bank_mask:0xf
	v_add_f64 v[1:2], v[1:2], v[35:36]
	s_delay_alu instid0(VALU_DEP_1) | instskip(NEXT) | instid1(VALU_DEP_2)
	v_mov_b32_dpp v35, v1 row_ror:8 row_mask:0xf bank_mask:0xf
	v_mov_b32_dpp v36, v2 row_ror:8 row_mask:0xf bank_mask:0xf
	s_delay_alu instid0(VALU_DEP_1)
	v_add_f64 v[1:2], v[1:2], v[35:36]
	ds_swizzle_b32 v35, v1 offset:swizzle(BROADCAST,32,15)
	ds_swizzle_b32 v36, v2 offset:swizzle(BROADCAST,32,15)
	s_waitcnt lgkmcnt(0)
	v_add_f64 v[1:2], v[1:2], v[35:36]
	ds_bpermute_b32 v1, v34, v1
	ds_bpermute_b32 v2, v34, v2
	s_cbranch_scc0 .LBB160_1
; %bb.2:
	s_mov_b32 s5, 0
	s_mov_b32 s0, exec_lo
	v_cmpx_eq_u32_e32 0, v0
	s_cbranch_execz .LBB160_4
; %bb.3:
	s_lshl_b64 s[0:1], s[4:5], 3
	v_mov_b32_e32 v0, 0
	s_add_u32 s0, s2, s0
	s_addc_u32 s1, s3, s1
	s_waitcnt lgkmcnt(0)
	global_store_b64 v0, v[1:2], s[0:1]
.LBB160_4:
	s_nop 0
	s_sendmsg sendmsg(MSG_DEALLOC_VGPRS)
	s_endpgm
	.section	.rodata,"a",@progbits
	.p2align	6, 0x0
	.amdhsa_kernel _Z6kernelI6reduceILN6hipcub20BlockReduceAlgorithmE2EEdLj64ELj16ELj100EEvPKT0_PS4_
		.amdhsa_group_segment_fixed_size 512
		.amdhsa_private_segment_fixed_size 0
		.amdhsa_kernarg_size 272
		.amdhsa_user_sgpr_count 15
		.amdhsa_user_sgpr_dispatch_ptr 0
		.amdhsa_user_sgpr_queue_ptr 0
		.amdhsa_user_sgpr_kernarg_segment_ptr 1
		.amdhsa_user_sgpr_dispatch_id 0
		.amdhsa_user_sgpr_private_segment_size 0
		.amdhsa_wavefront_size32 1
		.amdhsa_uses_dynamic_stack 0
		.amdhsa_enable_private_segment 0
		.amdhsa_system_sgpr_workgroup_id_x 1
		.amdhsa_system_sgpr_workgroup_id_y 0
		.amdhsa_system_sgpr_workgroup_id_z 0
		.amdhsa_system_sgpr_workgroup_info 0
		.amdhsa_system_vgpr_workitem_id 0
		.amdhsa_next_free_vgpr 37
		.amdhsa_next_free_sgpr 16
		.amdhsa_reserve_vcc 1
		.amdhsa_float_round_mode_32 0
		.amdhsa_float_round_mode_16_64 0
		.amdhsa_float_denorm_mode_32 3
		.amdhsa_float_denorm_mode_16_64 3
		.amdhsa_dx10_clamp 1
		.amdhsa_ieee_mode 1
		.amdhsa_fp16_overflow 0
		.amdhsa_workgroup_processor_mode 1
		.amdhsa_memory_ordered 1
		.amdhsa_forward_progress 0
		.amdhsa_shared_vgpr_count 0
		.amdhsa_exception_fp_ieee_invalid_op 0
		.amdhsa_exception_fp_denorm_src 0
		.amdhsa_exception_fp_ieee_div_zero 0
		.amdhsa_exception_fp_ieee_overflow 0
		.amdhsa_exception_fp_ieee_underflow 0
		.amdhsa_exception_fp_ieee_inexact 0
		.amdhsa_exception_int_div_zero 0
	.end_amdhsa_kernel
	.section	.text._Z6kernelI6reduceILN6hipcub20BlockReduceAlgorithmE2EEdLj64ELj16ELj100EEvPKT0_PS4_,"axG",@progbits,_Z6kernelI6reduceILN6hipcub20BlockReduceAlgorithmE2EEdLj64ELj16ELj100EEvPKT0_PS4_,comdat
.Lfunc_end160:
	.size	_Z6kernelI6reduceILN6hipcub20BlockReduceAlgorithmE2EEdLj64ELj16ELj100EEvPKT0_PS4_, .Lfunc_end160-_Z6kernelI6reduceILN6hipcub20BlockReduceAlgorithmE2EEdLj64ELj16ELj100EEvPKT0_PS4_
                                        ; -- End function
	.section	.AMDGPU.csdata,"",@progbits
; Kernel info:
; codeLenInByte = 592
; NumSgprs: 18
; NumVgprs: 37
; ScratchSize: 0
; MemoryBound: 1
; FloatMode: 240
; IeeeMode: 1
; LDSByteSize: 512 bytes/workgroup (compile time only)
; SGPRBlocks: 2
; VGPRBlocks: 4
; NumSGPRsForWavesPerEU: 18
; NumVGPRsForWavesPerEU: 37
; Occupancy: 16
; WaveLimiterHint : 0
; COMPUTE_PGM_RSRC2:SCRATCH_EN: 0
; COMPUTE_PGM_RSRC2:USER_SGPR: 15
; COMPUTE_PGM_RSRC2:TRAP_HANDLER: 0
; COMPUTE_PGM_RSRC2:TGID_X_EN: 1
; COMPUTE_PGM_RSRC2:TGID_Y_EN: 0
; COMPUTE_PGM_RSRC2:TGID_Z_EN: 0
; COMPUTE_PGM_RSRC2:TIDIG_COMP_CNT: 0
	.section	.text._Z6kernelI6reduceILN6hipcub20BlockReduceAlgorithmE2EEaLj64ELj1ELj100EEvPKT0_PS4_,"axG",@progbits,_Z6kernelI6reduceILN6hipcub20BlockReduceAlgorithmE2EEaLj64ELj1ELj100EEvPKT0_PS4_,comdat
	.protected	_Z6kernelI6reduceILN6hipcub20BlockReduceAlgorithmE2EEaLj64ELj1ELj100EEvPKT0_PS4_ ; -- Begin function _Z6kernelI6reduceILN6hipcub20BlockReduceAlgorithmE2EEaLj64ELj1ELj100EEvPKT0_PS4_
	.globl	_Z6kernelI6reduceILN6hipcub20BlockReduceAlgorithmE2EEaLj64ELj1ELj100EEvPKT0_PS4_
	.p2align	8
	.type	_Z6kernelI6reduceILN6hipcub20BlockReduceAlgorithmE2EEaLj64ELj1ELj100EEvPKT0_PS4_,@function
_Z6kernelI6reduceILN6hipcub20BlockReduceAlgorithmE2EEaLj64ELj1ELj100EEvPKT0_PS4_: ; @_Z6kernelI6reduceILN6hipcub20BlockReduceAlgorithmE2EEaLj64ELj1ELj100EEvPKT0_PS4_
; %bb.0:
	s_clause 0x1
	s_load_b32 s4, s[0:1], 0x1c
	s_load_b128 s[0:3], s[0:1], 0x0
	s_waitcnt lgkmcnt(0)
	s_and_b32 s4, s4, 0xffff
	s_delay_alu instid0(SALU_CYCLE_1)
	v_mad_u64_u32 v[1:2], null, s15, s4, v[0:1]
	global_load_u8 v2, v1, s[0:1]
	v_mov_b32_e32 v1, 0x7c
	s_movk_i32 s0, 0x64
	s_set_inst_prefetch_distance 0x1
	.p2align	6
.LBB161_1:                              ; =>This Inner Loop Header: Depth=1
	s_waitcnt vmcnt(0) lgkmcnt(0)
	s_barrier
	buffer_gl0_inv
	ds_load_u8 v3, v0 offset:32
	s_add_i32 s0, s0, -1
	s_delay_alu instid0(SALU_CYCLE_1) | instskip(SKIP_2) | instid1(VALU_DEP_1)
	s_cmp_eq_u32 s0, 0
	s_waitcnt lgkmcnt(0)
	v_add_nc_u16 v2, v3, v2
	v_and_b32_e32 v3, 0xff, v2
	s_delay_alu instid0(VALU_DEP_1) | instskip(NEXT) | instid1(VALU_DEP_1)
	v_mov_b32_dpp v3, v3 quad_perm:[1,0,3,2] row_mask:0xf bank_mask:0xf
	v_add_nc_u16 v2, v2, v3
	s_delay_alu instid0(VALU_DEP_1) | instskip(NEXT) | instid1(VALU_DEP_1)
	v_and_b32_e32 v3, 0xff, v2
	v_mov_b32_dpp v3, v3 quad_perm:[2,3,0,1] row_mask:0xf bank_mask:0xf
	s_delay_alu instid0(VALU_DEP_1) | instskip(NEXT) | instid1(VALU_DEP_1)
	v_add_nc_u16 v2, v2, v3
	v_and_b32_e32 v3, 0xff, v2
	s_delay_alu instid0(VALU_DEP_1) | instskip(NEXT) | instid1(VALU_DEP_1)
	v_mov_b32_dpp v3, v3 row_ror:4 row_mask:0xf bank_mask:0xf
	v_add_nc_u16 v2, v2, v3
	s_delay_alu instid0(VALU_DEP_1) | instskip(NEXT) | instid1(VALU_DEP_1)
	v_and_b32_e32 v3, 0xff, v2
	v_mov_b32_dpp v3, v3 row_ror:8 row_mask:0xf bank_mask:0xf
	s_delay_alu instid0(VALU_DEP_1) | instskip(NEXT) | instid1(VALU_DEP_1)
	v_add_nc_u16 v2, v2, v3
	v_and_b32_e32 v3, 0xff, v2
	ds_swizzle_b32 v3, v3 offset:swizzle(BROADCAST,32,15)
	s_waitcnt lgkmcnt(0)
	v_add_nc_u16 v2, v2, v3
	s_delay_alu instid0(VALU_DEP_1)
	v_and_b32_e32 v2, 0xff, v2
	ds_bpermute_b32 v2, v1, v2
	s_cbranch_scc0 .LBB161_1
; %bb.2:
	s_set_inst_prefetch_distance 0x2
	s_mov_b32 s0, exec_lo
	v_cmpx_eq_u32_e32 0, v0
	s_cbranch_execz .LBB161_4
; %bb.3:
	v_mov_b32_e32 v0, s15
	s_waitcnt lgkmcnt(0)
	global_store_b8 v0, v2, s[2:3]
.LBB161_4:
	s_nop 0
	s_sendmsg sendmsg(MSG_DEALLOC_VGPRS)
	s_endpgm
	.section	.rodata,"a",@progbits
	.p2align	6, 0x0
	.amdhsa_kernel _Z6kernelI6reduceILN6hipcub20BlockReduceAlgorithmE2EEaLj64ELj1ELj100EEvPKT0_PS4_
		.amdhsa_group_segment_fixed_size 64
		.amdhsa_private_segment_fixed_size 0
		.amdhsa_kernarg_size 272
		.amdhsa_user_sgpr_count 15
		.amdhsa_user_sgpr_dispatch_ptr 0
		.amdhsa_user_sgpr_queue_ptr 0
		.amdhsa_user_sgpr_kernarg_segment_ptr 1
		.amdhsa_user_sgpr_dispatch_id 0
		.amdhsa_user_sgpr_private_segment_size 0
		.amdhsa_wavefront_size32 1
		.amdhsa_uses_dynamic_stack 0
		.amdhsa_enable_private_segment 0
		.amdhsa_system_sgpr_workgroup_id_x 1
		.amdhsa_system_sgpr_workgroup_id_y 0
		.amdhsa_system_sgpr_workgroup_id_z 0
		.amdhsa_system_sgpr_workgroup_info 0
		.amdhsa_system_vgpr_workitem_id 0
		.amdhsa_next_free_vgpr 4
		.amdhsa_next_free_sgpr 16
		.amdhsa_reserve_vcc 0
		.amdhsa_float_round_mode_32 0
		.amdhsa_float_round_mode_16_64 0
		.amdhsa_float_denorm_mode_32 3
		.amdhsa_float_denorm_mode_16_64 3
		.amdhsa_dx10_clamp 1
		.amdhsa_ieee_mode 1
		.amdhsa_fp16_overflow 0
		.amdhsa_workgroup_processor_mode 1
		.amdhsa_memory_ordered 1
		.amdhsa_forward_progress 0
		.amdhsa_shared_vgpr_count 0
		.amdhsa_exception_fp_ieee_invalid_op 0
		.amdhsa_exception_fp_denorm_src 0
		.amdhsa_exception_fp_ieee_div_zero 0
		.amdhsa_exception_fp_ieee_overflow 0
		.amdhsa_exception_fp_ieee_underflow 0
		.amdhsa_exception_fp_ieee_inexact 0
		.amdhsa_exception_int_div_zero 0
	.end_amdhsa_kernel
	.section	.text._Z6kernelI6reduceILN6hipcub20BlockReduceAlgorithmE2EEaLj64ELj1ELj100EEvPKT0_PS4_,"axG",@progbits,_Z6kernelI6reduceILN6hipcub20BlockReduceAlgorithmE2EEaLj64ELj1ELj100EEvPKT0_PS4_,comdat
.Lfunc_end161:
	.size	_Z6kernelI6reduceILN6hipcub20BlockReduceAlgorithmE2EEaLj64ELj1ELj100EEvPKT0_PS4_, .Lfunc_end161-_Z6kernelI6reduceILN6hipcub20BlockReduceAlgorithmE2EEaLj64ELj1ELj100EEvPKT0_PS4_
                                        ; -- End function
	.section	.AMDGPU.csdata,"",@progbits
; Kernel info:
; codeLenInByte = 332
; NumSgprs: 16
; NumVgprs: 4
; ScratchSize: 0
; MemoryBound: 0
; FloatMode: 240
; IeeeMode: 1
; LDSByteSize: 64 bytes/workgroup (compile time only)
; SGPRBlocks: 1
; VGPRBlocks: 0
; NumSGPRsForWavesPerEU: 16
; NumVGPRsForWavesPerEU: 4
; Occupancy: 16
; WaveLimiterHint : 0
; COMPUTE_PGM_RSRC2:SCRATCH_EN: 0
; COMPUTE_PGM_RSRC2:USER_SGPR: 15
; COMPUTE_PGM_RSRC2:TRAP_HANDLER: 0
; COMPUTE_PGM_RSRC2:TGID_X_EN: 1
; COMPUTE_PGM_RSRC2:TGID_Y_EN: 0
; COMPUTE_PGM_RSRC2:TGID_Z_EN: 0
; COMPUTE_PGM_RSRC2:TIDIG_COMP_CNT: 0
	.section	.text._Z6kernelI6reduceILN6hipcub20BlockReduceAlgorithmE2EEaLj64ELj2ELj100EEvPKT0_PS4_,"axG",@progbits,_Z6kernelI6reduceILN6hipcub20BlockReduceAlgorithmE2EEaLj64ELj2ELj100EEvPKT0_PS4_,comdat
	.protected	_Z6kernelI6reduceILN6hipcub20BlockReduceAlgorithmE2EEaLj64ELj2ELj100EEvPKT0_PS4_ ; -- Begin function _Z6kernelI6reduceILN6hipcub20BlockReduceAlgorithmE2EEaLj64ELj2ELj100EEvPKT0_PS4_
	.globl	_Z6kernelI6reduceILN6hipcub20BlockReduceAlgorithmE2EEaLj64ELj2ELj100EEvPKT0_PS4_
	.p2align	8
	.type	_Z6kernelI6reduceILN6hipcub20BlockReduceAlgorithmE2EEaLj64ELj2ELj100EEvPKT0_PS4_,@function
_Z6kernelI6reduceILN6hipcub20BlockReduceAlgorithmE2EEaLj64ELj2ELj100EEvPKT0_PS4_: ; @_Z6kernelI6reduceILN6hipcub20BlockReduceAlgorithmE2EEaLj64ELj2ELj100EEvPKT0_PS4_
; %bb.0:
	s_clause 0x1
	s_load_b32 s4, s[0:1], 0x1c
	s_load_b128 s[0:3], s[0:1], 0x0
	s_waitcnt lgkmcnt(0)
	s_and_b32 s4, s4, 0xffff
	s_delay_alu instid0(SALU_CYCLE_1) | instskip(NEXT) | instid1(SALU_CYCLE_1)
	s_mul_i32 s4, s15, s4
	v_add_lshl_u32 v1, s4, v0, 1
	global_load_u16 v2, v1, s[0:1]
	v_mov_b32_e32 v1, 0x7c
	s_movk_i32 s0, 0x64
.LBB162_1:                              ; =>This Inner Loop Header: Depth=1
	s_waitcnt vmcnt(0)
	s_barrier
	buffer_gl0_inv
	ds_load_u8 v3, v0 offset:32
	v_lshrrev_b16 v4, 8, v2
	s_add_i32 s0, s0, -1
	s_delay_alu instid0(SALU_CYCLE_1) | instskip(NEXT) | instid1(VALU_DEP_1)
	s_cmp_eq_u32 s0, 0
	v_add_nc_u16 v4, v4, v2
	v_and_b32_e32 v2, 0xffffff00, v2
	s_waitcnt lgkmcnt(0)
	s_delay_alu instid0(VALU_DEP_2) | instskip(NEXT) | instid1(VALU_DEP_1)
	v_add_nc_u16 v3, v4, v3
	v_and_b32_e32 v4, 0xff, v3
	s_delay_alu instid0(VALU_DEP_1) | instskip(NEXT) | instid1(VALU_DEP_1)
	v_mov_b32_dpp v4, v4 quad_perm:[1,0,3,2] row_mask:0xf bank_mask:0xf
	v_add_nc_u16 v3, v3, v4
	s_delay_alu instid0(VALU_DEP_1) | instskip(NEXT) | instid1(VALU_DEP_1)
	v_and_b32_e32 v4, 0xff, v3
	v_mov_b32_dpp v4, v4 quad_perm:[2,3,0,1] row_mask:0xf bank_mask:0xf
	s_delay_alu instid0(VALU_DEP_1) | instskip(NEXT) | instid1(VALU_DEP_1)
	v_add_nc_u16 v3, v3, v4
	v_and_b32_e32 v4, 0xff, v3
	s_delay_alu instid0(VALU_DEP_1) | instskip(NEXT) | instid1(VALU_DEP_1)
	v_mov_b32_dpp v4, v4 row_ror:4 row_mask:0xf bank_mask:0xf
	v_add_nc_u16 v3, v3, v4
	s_delay_alu instid0(VALU_DEP_1) | instskip(NEXT) | instid1(VALU_DEP_1)
	v_and_b32_e32 v4, 0xff, v3
	v_mov_b32_dpp v4, v4 row_ror:8 row_mask:0xf bank_mask:0xf
	s_delay_alu instid0(VALU_DEP_1) | instskip(NEXT) | instid1(VALU_DEP_1)
	v_add_nc_u16 v3, v3, v4
	v_and_b32_e32 v4, 0xff, v3
	ds_swizzle_b32 v4, v4 offset:swizzle(BROADCAST,32,15)
	s_waitcnt lgkmcnt(0)
	v_add_nc_u16 v3, v3, v4
	s_delay_alu instid0(VALU_DEP_1) | instskip(SKIP_3) | instid1(VALU_DEP_1)
	v_and_b32_e32 v3, 0xff, v3
	ds_bpermute_b32 v3, v1, v3
	s_waitcnt lgkmcnt(0)
	v_and_b32_e32 v4, 0xff, v3
	v_or_b32_e32 v2, v4, v2
	s_delay_alu instid0(VALU_DEP_1)
	v_and_b32_e32 v2, 0xffff, v2
	s_cbranch_scc0 .LBB162_1
; %bb.2:
	s_mov_b32 s0, exec_lo
	v_cmpx_eq_u32_e32 0, v0
	s_cbranch_execz .LBB162_4
; %bb.3:
	v_mov_b32_e32 v0, s15
	global_store_b8 v0, v3, s[2:3]
.LBB162_4:
	s_nop 0
	s_sendmsg sendmsg(MSG_DEALLOC_VGPRS)
	s_endpgm
	.section	.rodata,"a",@progbits
	.p2align	6, 0x0
	.amdhsa_kernel _Z6kernelI6reduceILN6hipcub20BlockReduceAlgorithmE2EEaLj64ELj2ELj100EEvPKT0_PS4_
		.amdhsa_group_segment_fixed_size 64
		.amdhsa_private_segment_fixed_size 0
		.amdhsa_kernarg_size 272
		.amdhsa_user_sgpr_count 15
		.amdhsa_user_sgpr_dispatch_ptr 0
		.amdhsa_user_sgpr_queue_ptr 0
		.amdhsa_user_sgpr_kernarg_segment_ptr 1
		.amdhsa_user_sgpr_dispatch_id 0
		.amdhsa_user_sgpr_private_segment_size 0
		.amdhsa_wavefront_size32 1
		.amdhsa_uses_dynamic_stack 0
		.amdhsa_enable_private_segment 0
		.amdhsa_system_sgpr_workgroup_id_x 1
		.amdhsa_system_sgpr_workgroup_id_y 0
		.amdhsa_system_sgpr_workgroup_id_z 0
		.amdhsa_system_sgpr_workgroup_info 0
		.amdhsa_system_vgpr_workitem_id 0
		.amdhsa_next_free_vgpr 5
		.amdhsa_next_free_sgpr 16
		.amdhsa_reserve_vcc 0
		.amdhsa_float_round_mode_32 0
		.amdhsa_float_round_mode_16_64 0
		.amdhsa_float_denorm_mode_32 3
		.amdhsa_float_denorm_mode_16_64 3
		.amdhsa_dx10_clamp 1
		.amdhsa_ieee_mode 1
		.amdhsa_fp16_overflow 0
		.amdhsa_workgroup_processor_mode 1
		.amdhsa_memory_ordered 1
		.amdhsa_forward_progress 0
		.amdhsa_shared_vgpr_count 0
		.amdhsa_exception_fp_ieee_invalid_op 0
		.amdhsa_exception_fp_denorm_src 0
		.amdhsa_exception_fp_ieee_div_zero 0
		.amdhsa_exception_fp_ieee_overflow 0
		.amdhsa_exception_fp_ieee_underflow 0
		.amdhsa_exception_fp_ieee_inexact 0
		.amdhsa_exception_int_div_zero 0
	.end_amdhsa_kernel
	.section	.text._Z6kernelI6reduceILN6hipcub20BlockReduceAlgorithmE2EEaLj64ELj2ELj100EEvPKT0_PS4_,"axG",@progbits,_Z6kernelI6reduceILN6hipcub20BlockReduceAlgorithmE2EEaLj64ELj2ELj100EEvPKT0_PS4_,comdat
.Lfunc_end162:
	.size	_Z6kernelI6reduceILN6hipcub20BlockReduceAlgorithmE2EEaLj64ELj2ELj100EEvPKT0_PS4_, .Lfunc_end162-_Z6kernelI6reduceILN6hipcub20BlockReduceAlgorithmE2EEaLj64ELj2ELj100EEvPKT0_PS4_
                                        ; -- End function
	.section	.AMDGPU.csdata,"",@progbits
; Kernel info:
; codeLenInByte = 380
; NumSgprs: 16
; NumVgprs: 5
; ScratchSize: 0
; MemoryBound: 0
; FloatMode: 240
; IeeeMode: 1
; LDSByteSize: 64 bytes/workgroup (compile time only)
; SGPRBlocks: 1
; VGPRBlocks: 0
; NumSGPRsForWavesPerEU: 16
; NumVGPRsForWavesPerEU: 5
; Occupancy: 16
; WaveLimiterHint : 0
; COMPUTE_PGM_RSRC2:SCRATCH_EN: 0
; COMPUTE_PGM_RSRC2:USER_SGPR: 15
; COMPUTE_PGM_RSRC2:TRAP_HANDLER: 0
; COMPUTE_PGM_RSRC2:TGID_X_EN: 1
; COMPUTE_PGM_RSRC2:TGID_Y_EN: 0
; COMPUTE_PGM_RSRC2:TGID_Z_EN: 0
; COMPUTE_PGM_RSRC2:TIDIG_COMP_CNT: 0
	.section	.text._Z6kernelI6reduceILN6hipcub20BlockReduceAlgorithmE2EEaLj64ELj3ELj100EEvPKT0_PS4_,"axG",@progbits,_Z6kernelI6reduceILN6hipcub20BlockReduceAlgorithmE2EEaLj64ELj3ELj100EEvPKT0_PS4_,comdat
	.protected	_Z6kernelI6reduceILN6hipcub20BlockReduceAlgorithmE2EEaLj64ELj3ELj100EEvPKT0_PS4_ ; -- Begin function _Z6kernelI6reduceILN6hipcub20BlockReduceAlgorithmE2EEaLj64ELj3ELj100EEvPKT0_PS4_
	.globl	_Z6kernelI6reduceILN6hipcub20BlockReduceAlgorithmE2EEaLj64ELj3ELj100EEvPKT0_PS4_
	.p2align	8
	.type	_Z6kernelI6reduceILN6hipcub20BlockReduceAlgorithmE2EEaLj64ELj3ELj100EEvPKT0_PS4_,@function
_Z6kernelI6reduceILN6hipcub20BlockReduceAlgorithmE2EEaLj64ELj3ELj100EEvPKT0_PS4_: ; @_Z6kernelI6reduceILN6hipcub20BlockReduceAlgorithmE2EEaLj64ELj3ELj100EEvPKT0_PS4_
; %bb.0:
	s_clause 0x1
	s_load_b32 s4, s[0:1], 0x1c
	s_load_b128 s[0:3], s[0:1], 0x0
	s_waitcnt lgkmcnt(0)
	s_and_b32 s4, s4, 0xffff
	s_delay_alu instid0(SALU_CYCLE_1) | instskip(NEXT) | instid1(VALU_DEP_1)
	v_mad_u64_u32 v[1:2], null, s15, s4, v[0:1]
	v_lshl_add_u32 v1, v1, 1, v1
	s_delay_alu instid0(VALU_DEP_1)
	v_add_nc_u32_e32 v2, 1, v1
	s_clause 0x1
	global_load_u8 v2, v2, s[0:1]
	global_load_u8 v3, v1, s[0:1]
	v_add_nc_u32_e32 v1, 2, v1
	global_load_u8 v1, v1, s[0:1]
	s_movk_i32 s0, 0x64
	s_waitcnt vmcnt(2)
	v_lshlrev_b16 v2, 8, v2
	s_waitcnt vmcnt(1)
	s_delay_alu instid0(VALU_DEP_1) | instskip(NEXT) | instid1(VALU_DEP_1)
	v_or_b32_e32 v2, v3, v2
	v_and_b32_e32 v2, 0xffff, v2
	s_waitcnt vmcnt(0)
	s_delay_alu instid0(VALU_DEP_1)
	v_lshl_or_b32 v1, v1, 16, v2
	v_mov_b32_e32 v2, 0x7c
.LBB163_1:                              ; =>This Inner Loop Header: Depth=1
	s_barrier
	buffer_gl0_inv
	ds_load_u8 v3, v0 offset:32
	v_lshrrev_b32_e32 v4, 8, v1
	v_lshrrev_b32_e32 v5, 16, v1
	s_add_i32 s0, s0, -1
	s_delay_alu instid0(SALU_CYCLE_1) | instskip(NEXT) | instid1(VALU_DEP_2)
	s_cmp_eq_u32 s0, 0
	v_add_nc_u16 v6, v4, v1
	v_lshlrev_b16 v4, 8, v4
	s_delay_alu instid0(VALU_DEP_2) | instskip(SKIP_1) | instid1(VALU_DEP_1)
	v_add_nc_u16 v5, v6, v5
	s_waitcnt lgkmcnt(0)
	v_add_nc_u16 v3, v5, v3
	s_delay_alu instid0(VALU_DEP_1) | instskip(NEXT) | instid1(VALU_DEP_1)
	v_and_b32_e32 v5, 0xff, v3
	v_mov_b32_dpp v5, v5 quad_perm:[1,0,3,2] row_mask:0xf bank_mask:0xf
	s_delay_alu instid0(VALU_DEP_1) | instskip(NEXT) | instid1(VALU_DEP_1)
	v_add_nc_u16 v3, v3, v5
	v_and_b32_e32 v5, 0xff, v3
	s_delay_alu instid0(VALU_DEP_1) | instskip(NEXT) | instid1(VALU_DEP_1)
	v_mov_b32_dpp v5, v5 quad_perm:[2,3,0,1] row_mask:0xf bank_mask:0xf
	v_add_nc_u16 v3, v3, v5
	s_delay_alu instid0(VALU_DEP_1) | instskip(NEXT) | instid1(VALU_DEP_1)
	v_and_b32_e32 v5, 0xff, v3
	v_mov_b32_dpp v5, v5 row_ror:4 row_mask:0xf bank_mask:0xf
	s_delay_alu instid0(VALU_DEP_1) | instskip(NEXT) | instid1(VALU_DEP_1)
	v_add_nc_u16 v3, v3, v5
	v_and_b32_e32 v5, 0xff, v3
	s_delay_alu instid0(VALU_DEP_1) | instskip(NEXT) | instid1(VALU_DEP_1)
	v_mov_b32_dpp v5, v5 row_ror:8 row_mask:0xf bank_mask:0xf
	v_add_nc_u16 v3, v3, v5
	s_delay_alu instid0(VALU_DEP_1) | instskip(SKIP_3) | instid1(VALU_DEP_1)
	v_and_b32_e32 v5, 0xff, v3
	ds_swizzle_b32 v5, v5 offset:swizzle(BROADCAST,32,15)
	s_waitcnt lgkmcnt(0)
	v_add_nc_u16 v3, v3, v5
	v_and_b32_e32 v3, 0xff, v3
	ds_bpermute_b32 v3, v2, v3
	s_waitcnt lgkmcnt(0)
	v_and_b32_e32 v5, 0xff, v3
	s_delay_alu instid0(VALU_DEP_1) | instskip(NEXT) | instid1(VALU_DEP_1)
	v_or_b32_e32 v4, v5, v4
	v_and_b32_e32 v4, 0xffff, v4
	s_delay_alu instid0(VALU_DEP_1)
	v_and_or_b32 v1, 0xff0000, v1, v4
	s_cbranch_scc0 .LBB163_1
; %bb.2:
	s_mov_b32 s0, exec_lo
	v_cmpx_eq_u32_e32 0, v0
	s_cbranch_execz .LBB163_4
; %bb.3:
	v_mov_b32_e32 v0, s15
	global_store_b8 v0, v3, s[2:3]
.LBB163_4:
	s_nop 0
	s_sendmsg sendmsg(MSG_DEALLOC_VGPRS)
	s_endpgm
	.section	.rodata,"a",@progbits
	.p2align	6, 0x0
	.amdhsa_kernel _Z6kernelI6reduceILN6hipcub20BlockReduceAlgorithmE2EEaLj64ELj3ELj100EEvPKT0_PS4_
		.amdhsa_group_segment_fixed_size 64
		.amdhsa_private_segment_fixed_size 0
		.amdhsa_kernarg_size 272
		.amdhsa_user_sgpr_count 15
		.amdhsa_user_sgpr_dispatch_ptr 0
		.amdhsa_user_sgpr_queue_ptr 0
		.amdhsa_user_sgpr_kernarg_segment_ptr 1
		.amdhsa_user_sgpr_dispatch_id 0
		.amdhsa_user_sgpr_private_segment_size 0
		.amdhsa_wavefront_size32 1
		.amdhsa_uses_dynamic_stack 0
		.amdhsa_enable_private_segment 0
		.amdhsa_system_sgpr_workgroup_id_x 1
		.amdhsa_system_sgpr_workgroup_id_y 0
		.amdhsa_system_sgpr_workgroup_id_z 0
		.amdhsa_system_sgpr_workgroup_info 0
		.amdhsa_system_vgpr_workitem_id 0
		.amdhsa_next_free_vgpr 7
		.amdhsa_next_free_sgpr 16
		.amdhsa_reserve_vcc 0
		.amdhsa_float_round_mode_32 0
		.amdhsa_float_round_mode_16_64 0
		.amdhsa_float_denorm_mode_32 3
		.amdhsa_float_denorm_mode_16_64 3
		.amdhsa_dx10_clamp 1
		.amdhsa_ieee_mode 1
		.amdhsa_fp16_overflow 0
		.amdhsa_workgroup_processor_mode 1
		.amdhsa_memory_ordered 1
		.amdhsa_forward_progress 0
		.amdhsa_shared_vgpr_count 0
		.amdhsa_exception_fp_ieee_invalid_op 0
		.amdhsa_exception_fp_denorm_src 0
		.amdhsa_exception_fp_ieee_div_zero 0
		.amdhsa_exception_fp_ieee_overflow 0
		.amdhsa_exception_fp_ieee_underflow 0
		.amdhsa_exception_fp_ieee_inexact 0
		.amdhsa_exception_int_div_zero 0
	.end_amdhsa_kernel
	.section	.text._Z6kernelI6reduceILN6hipcub20BlockReduceAlgorithmE2EEaLj64ELj3ELj100EEvPKT0_PS4_,"axG",@progbits,_Z6kernelI6reduceILN6hipcub20BlockReduceAlgorithmE2EEaLj64ELj3ELj100EEvPKT0_PS4_,comdat
.Lfunc_end163:
	.size	_Z6kernelI6reduceILN6hipcub20BlockReduceAlgorithmE2EEaLj64ELj3ELj100EEvPKT0_PS4_, .Lfunc_end163-_Z6kernelI6reduceILN6hipcub20BlockReduceAlgorithmE2EEaLj64ELj3ELj100EEvPKT0_PS4_
                                        ; -- End function
	.section	.AMDGPU.csdata,"",@progbits
; Kernel info:
; codeLenInByte = 484
; NumSgprs: 16
; NumVgprs: 7
; ScratchSize: 0
; MemoryBound: 0
; FloatMode: 240
; IeeeMode: 1
; LDSByteSize: 64 bytes/workgroup (compile time only)
; SGPRBlocks: 1
; VGPRBlocks: 0
; NumSGPRsForWavesPerEU: 16
; NumVGPRsForWavesPerEU: 7
; Occupancy: 16
; WaveLimiterHint : 0
; COMPUTE_PGM_RSRC2:SCRATCH_EN: 0
; COMPUTE_PGM_RSRC2:USER_SGPR: 15
; COMPUTE_PGM_RSRC2:TRAP_HANDLER: 0
; COMPUTE_PGM_RSRC2:TGID_X_EN: 1
; COMPUTE_PGM_RSRC2:TGID_Y_EN: 0
; COMPUTE_PGM_RSRC2:TGID_Z_EN: 0
; COMPUTE_PGM_RSRC2:TIDIG_COMP_CNT: 0
	.section	.text._Z6kernelI6reduceILN6hipcub20BlockReduceAlgorithmE2EEaLj64ELj4ELj100EEvPKT0_PS4_,"axG",@progbits,_Z6kernelI6reduceILN6hipcub20BlockReduceAlgorithmE2EEaLj64ELj4ELj100EEvPKT0_PS4_,comdat
	.protected	_Z6kernelI6reduceILN6hipcub20BlockReduceAlgorithmE2EEaLj64ELj4ELj100EEvPKT0_PS4_ ; -- Begin function _Z6kernelI6reduceILN6hipcub20BlockReduceAlgorithmE2EEaLj64ELj4ELj100EEvPKT0_PS4_
	.globl	_Z6kernelI6reduceILN6hipcub20BlockReduceAlgorithmE2EEaLj64ELj4ELj100EEvPKT0_PS4_
	.p2align	8
	.type	_Z6kernelI6reduceILN6hipcub20BlockReduceAlgorithmE2EEaLj64ELj4ELj100EEvPKT0_PS4_,@function
_Z6kernelI6reduceILN6hipcub20BlockReduceAlgorithmE2EEaLj64ELj4ELj100EEvPKT0_PS4_: ; @_Z6kernelI6reduceILN6hipcub20BlockReduceAlgorithmE2EEaLj64ELj4ELj100EEvPKT0_PS4_
; %bb.0:
	s_clause 0x1
	s_load_b32 s4, s[0:1], 0x1c
	s_load_b128 s[0:3], s[0:1], 0x0
	v_mov_b32_e32 v2, 0x7c
	s_waitcnt lgkmcnt(0)
	s_and_b32 s4, s4, 0xffff
	s_delay_alu instid0(SALU_CYCLE_1) | instskip(NEXT) | instid1(SALU_CYCLE_1)
	s_mul_i32 s4, s15, s4
	v_add_lshl_u32 v1, s4, v0, 2
	global_load_b32 v1, v1, s[0:1]
	s_movk_i32 s0, 0x64
.LBB164_1:                              ; =>This Inner Loop Header: Depth=1
	s_waitcnt vmcnt(0)
	s_delay_alu instid0(VALU_DEP_1)
	v_lshrrev_b32_e32 v3, 8, v1
	s_barrier
	buffer_gl0_inv
	ds_load_u8 v4, v0 offset:32
	v_lshrrev_b32_e32 v5, 16, v1
	v_add_nc_u16 v3, v3, v1
	v_lshrrev_b32_e32 v6, 24, v1
	s_add_i32 s0, s0, -1
	s_delay_alu instid0(SALU_CYCLE_1) | instskip(NEXT) | instid1(VALU_DEP_2)
	s_cmp_eq_u32 s0, 0
	v_add_nc_u16 v3, v3, v5
	s_delay_alu instid0(VALU_DEP_1) | instskip(SKIP_1) | instid1(VALU_DEP_1)
	v_add_nc_u16 v3, v3, v6
	s_waitcnt lgkmcnt(0)
	v_add_nc_u16 v3, v3, v4
	s_delay_alu instid0(VALU_DEP_1) | instskip(NEXT) | instid1(VALU_DEP_1)
	v_and_b32_e32 v4, 0xff, v3
	v_mov_b32_dpp v4, v4 quad_perm:[1,0,3,2] row_mask:0xf bank_mask:0xf
	s_delay_alu instid0(VALU_DEP_1) | instskip(NEXT) | instid1(VALU_DEP_1)
	v_add_nc_u16 v3, v3, v4
	v_and_b32_e32 v4, 0xff, v3
	s_delay_alu instid0(VALU_DEP_1) | instskip(NEXT) | instid1(VALU_DEP_1)
	v_mov_b32_dpp v4, v4 quad_perm:[2,3,0,1] row_mask:0xf bank_mask:0xf
	v_add_nc_u16 v3, v3, v4
	s_delay_alu instid0(VALU_DEP_1) | instskip(NEXT) | instid1(VALU_DEP_1)
	v_and_b32_e32 v4, 0xff, v3
	v_mov_b32_dpp v4, v4 row_ror:4 row_mask:0xf bank_mask:0xf
	s_delay_alu instid0(VALU_DEP_1) | instskip(NEXT) | instid1(VALU_DEP_1)
	v_add_nc_u16 v3, v3, v4
	v_and_b32_e32 v4, 0xff, v3
	s_delay_alu instid0(VALU_DEP_1) | instskip(NEXT) | instid1(VALU_DEP_1)
	v_mov_b32_dpp v4, v4 row_ror:8 row_mask:0xf bank_mask:0xf
	v_add_nc_u16 v3, v3, v4
	s_delay_alu instid0(VALU_DEP_1) | instskip(SKIP_3) | instid1(VALU_DEP_1)
	v_and_b32_e32 v4, 0xff, v3
	ds_swizzle_b32 v4, v4 offset:swizzle(BROADCAST,32,15)
	s_waitcnt lgkmcnt(0)
	v_add_nc_u16 v3, v3, v4
	v_and_b32_e32 v3, 0xff, v3
	ds_bpermute_b32 v3, v2, v3
	s_waitcnt lgkmcnt(0)
	v_perm_b32 v1, v3, v1, 0x3020104
	s_cbranch_scc0 .LBB164_1
; %bb.2:
	s_mov_b32 s0, exec_lo
	v_cmpx_eq_u32_e32 0, v0
	s_cbranch_execz .LBB164_4
; %bb.3:
	v_mov_b32_e32 v0, s15
	global_store_b8 v0, v3, s[2:3]
.LBB164_4:
	s_nop 0
	s_sendmsg sendmsg(MSG_DEALLOC_VGPRS)
	s_endpgm
	.section	.rodata,"a",@progbits
	.p2align	6, 0x0
	.amdhsa_kernel _Z6kernelI6reduceILN6hipcub20BlockReduceAlgorithmE2EEaLj64ELj4ELj100EEvPKT0_PS4_
		.amdhsa_group_segment_fixed_size 64
		.amdhsa_private_segment_fixed_size 0
		.amdhsa_kernarg_size 272
		.amdhsa_user_sgpr_count 15
		.amdhsa_user_sgpr_dispatch_ptr 0
		.amdhsa_user_sgpr_queue_ptr 0
		.amdhsa_user_sgpr_kernarg_segment_ptr 1
		.amdhsa_user_sgpr_dispatch_id 0
		.amdhsa_user_sgpr_private_segment_size 0
		.amdhsa_wavefront_size32 1
		.amdhsa_uses_dynamic_stack 0
		.amdhsa_enable_private_segment 0
		.amdhsa_system_sgpr_workgroup_id_x 1
		.amdhsa_system_sgpr_workgroup_id_y 0
		.amdhsa_system_sgpr_workgroup_id_z 0
		.amdhsa_system_sgpr_workgroup_info 0
		.amdhsa_system_vgpr_workitem_id 0
		.amdhsa_next_free_vgpr 7
		.amdhsa_next_free_sgpr 16
		.amdhsa_reserve_vcc 0
		.amdhsa_float_round_mode_32 0
		.amdhsa_float_round_mode_16_64 0
		.amdhsa_float_denorm_mode_32 3
		.amdhsa_float_denorm_mode_16_64 3
		.amdhsa_dx10_clamp 1
		.amdhsa_ieee_mode 1
		.amdhsa_fp16_overflow 0
		.amdhsa_workgroup_processor_mode 1
		.amdhsa_memory_ordered 1
		.amdhsa_forward_progress 0
		.amdhsa_shared_vgpr_count 0
		.amdhsa_exception_fp_ieee_invalid_op 0
		.amdhsa_exception_fp_denorm_src 0
		.amdhsa_exception_fp_ieee_div_zero 0
		.amdhsa_exception_fp_ieee_overflow 0
		.amdhsa_exception_fp_ieee_underflow 0
		.amdhsa_exception_fp_ieee_inexact 0
		.amdhsa_exception_int_div_zero 0
	.end_amdhsa_kernel
	.section	.text._Z6kernelI6reduceILN6hipcub20BlockReduceAlgorithmE2EEaLj64ELj4ELj100EEvPKT0_PS4_,"axG",@progbits,_Z6kernelI6reduceILN6hipcub20BlockReduceAlgorithmE2EEaLj64ELj4ELj100EEvPKT0_PS4_,comdat
.Lfunc_end164:
	.size	_Z6kernelI6reduceILN6hipcub20BlockReduceAlgorithmE2EEaLj64ELj4ELj100EEvPKT0_PS4_, .Lfunc_end164-_Z6kernelI6reduceILN6hipcub20BlockReduceAlgorithmE2EEaLj64ELj4ELj100EEvPKT0_PS4_
                                        ; -- End function
	.section	.AMDGPU.csdata,"",@progbits
; Kernel info:
; codeLenInByte = 384
; NumSgprs: 16
; NumVgprs: 7
; ScratchSize: 0
; MemoryBound: 0
; FloatMode: 240
; IeeeMode: 1
; LDSByteSize: 64 bytes/workgroup (compile time only)
; SGPRBlocks: 1
; VGPRBlocks: 0
; NumSGPRsForWavesPerEU: 16
; NumVGPRsForWavesPerEU: 7
; Occupancy: 16
; WaveLimiterHint : 0
; COMPUTE_PGM_RSRC2:SCRATCH_EN: 0
; COMPUTE_PGM_RSRC2:USER_SGPR: 15
; COMPUTE_PGM_RSRC2:TRAP_HANDLER: 0
; COMPUTE_PGM_RSRC2:TGID_X_EN: 1
; COMPUTE_PGM_RSRC2:TGID_Y_EN: 0
; COMPUTE_PGM_RSRC2:TGID_Z_EN: 0
; COMPUTE_PGM_RSRC2:TIDIG_COMP_CNT: 0
	.section	.text._Z6kernelI6reduceILN6hipcub20BlockReduceAlgorithmE2EEaLj64ELj8ELj100EEvPKT0_PS4_,"axG",@progbits,_Z6kernelI6reduceILN6hipcub20BlockReduceAlgorithmE2EEaLj64ELj8ELj100EEvPKT0_PS4_,comdat
	.protected	_Z6kernelI6reduceILN6hipcub20BlockReduceAlgorithmE2EEaLj64ELj8ELj100EEvPKT0_PS4_ ; -- Begin function _Z6kernelI6reduceILN6hipcub20BlockReduceAlgorithmE2EEaLj64ELj8ELj100EEvPKT0_PS4_
	.globl	_Z6kernelI6reduceILN6hipcub20BlockReduceAlgorithmE2EEaLj64ELj8ELj100EEvPKT0_PS4_
	.p2align	8
	.type	_Z6kernelI6reduceILN6hipcub20BlockReduceAlgorithmE2EEaLj64ELj8ELj100EEvPKT0_PS4_,@function
_Z6kernelI6reduceILN6hipcub20BlockReduceAlgorithmE2EEaLj64ELj8ELj100EEvPKT0_PS4_: ; @_Z6kernelI6reduceILN6hipcub20BlockReduceAlgorithmE2EEaLj64ELj8ELj100EEvPKT0_PS4_
; %bb.0:
	s_clause 0x1
	s_load_b32 s4, s[0:1], 0x1c
	s_load_b128 s[0:3], s[0:1], 0x0
	v_mov_b32_e32 v3, 0x7c
	s_waitcnt lgkmcnt(0)
	s_and_b32 s4, s4, 0xffff
	s_delay_alu instid0(SALU_CYCLE_1) | instskip(NEXT) | instid1(SALU_CYCLE_1)
	s_mul_i32 s4, s15, s4
	v_add_lshl_u32 v1, s4, v0, 3
	global_load_b64 v[1:2], v1, s[0:1]
	s_movk_i32 s0, 0x64
.LBB165_1:                              ; =>This Inner Loop Header: Depth=1
	s_waitcnt vmcnt(0)
	s_delay_alu instid0(VALU_DEP_1) | instskip(SKIP_3) | instid1(VALU_DEP_3)
	v_lshrrev_b32_e32 v4, 8, v1
	v_lshrrev_b32_e32 v5, 16, v1
	;; [unrolled: 1-line block ×3, first 2 shown]
	s_barrier
	v_add_nc_u16 v4, v4, v1
	buffer_gl0_inv
	v_lshrrev_b32_e32 v7, 16, v2
	s_add_i32 s0, s0, -1
	s_delay_alu instid0(SALU_CYCLE_1) | instskip(SKIP_2) | instid1(VALU_DEP_2)
	s_cmp_eq_u32 s0, 0
	v_add_nc_u16 v4, v4, v5
	v_lshrrev_b32_e32 v5, 8, v2
	v_add_nc_u16 v4, v4, v6
	ds_load_u8 v6, v0 offset:32
	v_add_nc_u16 v4, v4, v2
	s_delay_alu instid0(VALU_DEP_1) | instskip(SKIP_2) | instid1(VALU_DEP_3)
	v_add_nc_u16 v4, v4, v5
	v_lshrrev_b32_e32 v5, 24, v2
	v_perm_b32 v2, v2, v2, 0x3060504
	v_add_nc_u16 v4, v4, v7
	s_delay_alu instid0(VALU_DEP_1) | instskip(SKIP_1) | instid1(VALU_DEP_1)
	v_add_nc_u16 v4, v4, v5
	s_waitcnt lgkmcnt(0)
	v_add_nc_u16 v4, v4, v6
	s_delay_alu instid0(VALU_DEP_1) | instskip(NEXT) | instid1(VALU_DEP_1)
	v_and_b32_e32 v5, 0xff, v4
	v_mov_b32_dpp v5, v5 quad_perm:[1,0,3,2] row_mask:0xf bank_mask:0xf
	s_delay_alu instid0(VALU_DEP_1) | instskip(NEXT) | instid1(VALU_DEP_1)
	v_add_nc_u16 v4, v4, v5
	v_and_b32_e32 v5, 0xff, v4
	s_delay_alu instid0(VALU_DEP_1) | instskip(NEXT) | instid1(VALU_DEP_1)
	v_mov_b32_dpp v5, v5 quad_perm:[2,3,0,1] row_mask:0xf bank_mask:0xf
	v_add_nc_u16 v4, v4, v5
	s_delay_alu instid0(VALU_DEP_1) | instskip(NEXT) | instid1(VALU_DEP_1)
	v_and_b32_e32 v5, 0xff, v4
	v_mov_b32_dpp v5, v5 row_ror:4 row_mask:0xf bank_mask:0xf
	s_delay_alu instid0(VALU_DEP_1) | instskip(NEXT) | instid1(VALU_DEP_1)
	v_add_nc_u16 v4, v4, v5
	v_and_b32_e32 v5, 0xff, v4
	s_delay_alu instid0(VALU_DEP_1) | instskip(NEXT) | instid1(VALU_DEP_1)
	v_mov_b32_dpp v5, v5 row_ror:8 row_mask:0xf bank_mask:0xf
	v_add_nc_u16 v4, v4, v5
	s_delay_alu instid0(VALU_DEP_1) | instskip(SKIP_3) | instid1(VALU_DEP_1)
	v_and_b32_e32 v5, 0xff, v4
	ds_swizzle_b32 v5, v5 offset:swizzle(BROADCAST,32,15)
	s_waitcnt lgkmcnt(0)
	v_add_nc_u16 v4, v4, v5
	v_and_b32_e32 v4, 0xff, v4
	ds_bpermute_b32 v4, v3, v4
	s_waitcnt lgkmcnt(0)
	v_perm_b32 v1, v4, v1, 0x3020104
	s_cbranch_scc0 .LBB165_1
; %bb.2:
	s_mov_b32 s0, exec_lo
	v_cmpx_eq_u32_e32 0, v0
	s_cbranch_execz .LBB165_4
; %bb.3:
	v_mov_b32_e32 v0, s15
	global_store_b8 v0, v4, s[2:3]
.LBB165_4:
	s_nop 0
	s_sendmsg sendmsg(MSG_DEALLOC_VGPRS)
	s_endpgm
	.section	.rodata,"a",@progbits
	.p2align	6, 0x0
	.amdhsa_kernel _Z6kernelI6reduceILN6hipcub20BlockReduceAlgorithmE2EEaLj64ELj8ELj100EEvPKT0_PS4_
		.amdhsa_group_segment_fixed_size 64
		.amdhsa_private_segment_fixed_size 0
		.amdhsa_kernarg_size 272
		.amdhsa_user_sgpr_count 15
		.amdhsa_user_sgpr_dispatch_ptr 0
		.amdhsa_user_sgpr_queue_ptr 0
		.amdhsa_user_sgpr_kernarg_segment_ptr 1
		.amdhsa_user_sgpr_dispatch_id 0
		.amdhsa_user_sgpr_private_segment_size 0
		.amdhsa_wavefront_size32 1
		.amdhsa_uses_dynamic_stack 0
		.amdhsa_enable_private_segment 0
		.amdhsa_system_sgpr_workgroup_id_x 1
		.amdhsa_system_sgpr_workgroup_id_y 0
		.amdhsa_system_sgpr_workgroup_id_z 0
		.amdhsa_system_sgpr_workgroup_info 0
		.amdhsa_system_vgpr_workitem_id 0
		.amdhsa_next_free_vgpr 8
		.amdhsa_next_free_sgpr 16
		.amdhsa_reserve_vcc 0
		.amdhsa_float_round_mode_32 0
		.amdhsa_float_round_mode_16_64 0
		.amdhsa_float_denorm_mode_32 3
		.amdhsa_float_denorm_mode_16_64 3
		.amdhsa_dx10_clamp 1
		.amdhsa_ieee_mode 1
		.amdhsa_fp16_overflow 0
		.amdhsa_workgroup_processor_mode 1
		.amdhsa_memory_ordered 1
		.amdhsa_forward_progress 0
		.amdhsa_shared_vgpr_count 0
		.amdhsa_exception_fp_ieee_invalid_op 0
		.amdhsa_exception_fp_denorm_src 0
		.amdhsa_exception_fp_ieee_div_zero 0
		.amdhsa_exception_fp_ieee_overflow 0
		.amdhsa_exception_fp_ieee_underflow 0
		.amdhsa_exception_fp_ieee_inexact 0
		.amdhsa_exception_int_div_zero 0
	.end_amdhsa_kernel
	.section	.text._Z6kernelI6reduceILN6hipcub20BlockReduceAlgorithmE2EEaLj64ELj8ELj100EEvPKT0_PS4_,"axG",@progbits,_Z6kernelI6reduceILN6hipcub20BlockReduceAlgorithmE2EEaLj64ELj8ELj100EEvPKT0_PS4_,comdat
.Lfunc_end165:
	.size	_Z6kernelI6reduceILN6hipcub20BlockReduceAlgorithmE2EEaLj64ELj8ELj100EEvPKT0_PS4_, .Lfunc_end165-_Z6kernelI6reduceILN6hipcub20BlockReduceAlgorithmE2EEaLj64ELj8ELj100EEvPKT0_PS4_
                                        ; -- End function
	.section	.AMDGPU.csdata,"",@progbits
; Kernel info:
; codeLenInByte = 444
; NumSgprs: 16
; NumVgprs: 8
; ScratchSize: 0
; MemoryBound: 0
; FloatMode: 240
; IeeeMode: 1
; LDSByteSize: 64 bytes/workgroup (compile time only)
; SGPRBlocks: 1
; VGPRBlocks: 0
; NumSGPRsForWavesPerEU: 16
; NumVGPRsForWavesPerEU: 8
; Occupancy: 16
; WaveLimiterHint : 0
; COMPUTE_PGM_RSRC2:SCRATCH_EN: 0
; COMPUTE_PGM_RSRC2:USER_SGPR: 15
; COMPUTE_PGM_RSRC2:TRAP_HANDLER: 0
; COMPUTE_PGM_RSRC2:TGID_X_EN: 1
; COMPUTE_PGM_RSRC2:TGID_Y_EN: 0
; COMPUTE_PGM_RSRC2:TGID_Z_EN: 0
; COMPUTE_PGM_RSRC2:TIDIG_COMP_CNT: 0
	.section	.text._Z6kernelI6reduceILN6hipcub20BlockReduceAlgorithmE2EEaLj64ELj11ELj100EEvPKT0_PS4_,"axG",@progbits,_Z6kernelI6reduceILN6hipcub20BlockReduceAlgorithmE2EEaLj64ELj11ELj100EEvPKT0_PS4_,comdat
	.protected	_Z6kernelI6reduceILN6hipcub20BlockReduceAlgorithmE2EEaLj64ELj11ELj100EEvPKT0_PS4_ ; -- Begin function _Z6kernelI6reduceILN6hipcub20BlockReduceAlgorithmE2EEaLj64ELj11ELj100EEvPKT0_PS4_
	.globl	_Z6kernelI6reduceILN6hipcub20BlockReduceAlgorithmE2EEaLj64ELj11ELj100EEvPKT0_PS4_
	.p2align	8
	.type	_Z6kernelI6reduceILN6hipcub20BlockReduceAlgorithmE2EEaLj64ELj11ELj100EEvPKT0_PS4_,@function
_Z6kernelI6reduceILN6hipcub20BlockReduceAlgorithmE2EEaLj64ELj11ELj100EEvPKT0_PS4_: ; @_Z6kernelI6reduceILN6hipcub20BlockReduceAlgorithmE2EEaLj64ELj11ELj100EEvPKT0_PS4_
; %bb.0:
	s_load_b32 s2, s[0:1], 0x1c
	s_waitcnt lgkmcnt(0)
	s_and_b32 s2, s2, 0xffff
	s_delay_alu instid0(SALU_CYCLE_1) | instskip(SKIP_1) | instid1(VALU_DEP_1)
	v_mad_u64_u32 v[1:2], null, s15, s2, v[0:1]
	s_load_b128 s[0:3], s[0:1], 0x0
	v_mul_lo_u32 v1, v1, 11
	s_delay_alu instid0(VALU_DEP_1)
	v_add_nc_u32_e32 v3, 5, v1
	v_add_nc_u32_e32 v4, 7, v1
	;; [unrolled: 1-line block ×5, first 2 shown]
	s_waitcnt lgkmcnt(0)
	s_clause 0x1
	global_load_u8 v8, v3, s[0:1]
	global_load_u8 v4, v4, s[0:1]
	v_add_nc_u32_e32 v7, 6, v1
	v_add_nc_u32_e32 v3, 2, v1
	s_clause 0x5
	global_load_u8 v9, v2, s[0:1]
	global_load_u8 v5, v5, s[0:1]
	;; [unrolled: 1-line block ×6, first 2 shown]
	v_add_nc_u32_e32 v2, 8, v1
	v_add_nc_u32_e32 v3, 9, v1
	;; [unrolled: 1-line block ×3, first 2 shown]
	s_clause 0x2
	global_load_u8 v1, v2, s[0:1]
	global_load_u8 v2, v3, s[0:1]
	;; [unrolled: 1-line block ×3, first 2 shown]
	s_movk_i32 s0, 0x64
	s_waitcnt vmcnt(8)
	v_lshlrev_b16 v9, 8, v9
	v_lshlrev_b16 v8, 8, v8
	;; [unrolled: 1-line block ×3, first 2 shown]
	s_waitcnt vmcnt(7)
	v_lshlrev_b16 v5, 8, v5
	s_waitcnt vmcnt(6)
	v_or_b32_e32 v6, v6, v8
	s_waitcnt vmcnt(5)
	v_or_b32_e32 v4, v7, v4
	;; [unrolled: 2-line block ×4, first 2 shown]
	v_and_b32_e32 v6, 0xffff, v6
	v_lshlrev_b32_e32 v4, 16, v4
	v_and_b32_e32 v7, 0xffff, v7
	s_delay_alu instid0(VALU_DEP_4) | instskip(NEXT) | instid1(VALU_DEP_3)
	v_dual_mov_b32 v5, 0x7c :: v_dual_lshlrev_b32 v8, 16, v5
	v_or_b32_e32 v4, v6, v4
	s_delay_alu instid0(VALU_DEP_2) | instskip(NEXT) | instid1(VALU_DEP_2)
	v_or_b32_e32 v6, v7, v8
	v_lshrrev_b32_e32 v7, 16, v4
	v_lshrrev_b32_e32 v8, 8, v4
	;; [unrolled: 1-line block ×3, first 2 shown]
.LBB166_1:                              ; =>This Inner Loop Header: Depth=1
	s_delay_alu instid0(VALU_DEP_1)
	v_lshrrev_b32_e32 v10, 8, v6
	v_lshrrev_b32_e32 v11, 16, v6
	v_lshrrev_b32_e32 v12, 24, v6
	s_waitcnt vmcnt(0)
	s_barrier
	v_add_nc_u16 v10, v10, v6
	buffer_gl0_inv
	s_add_i32 s0, s0, -1
	s_delay_alu instid0(SALU_CYCLE_1) | instskip(SKIP_3) | instid1(VALU_DEP_1)
	s_cmp_eq_u32 s0, 0
	v_add_nc_u16 v10, v10, v11
	ds_load_u8 v11, v0 offset:32
	v_add_nc_u16 v10, v10, v12
	v_add_nc_u16 v10, v10, v4
	s_delay_alu instid0(VALU_DEP_1) | instskip(NEXT) | instid1(VALU_DEP_1)
	v_add_nc_u16 v10, v10, v8
	v_add_nc_u16 v10, v10, v7
	s_delay_alu instid0(VALU_DEP_1) | instskip(NEXT) | instid1(VALU_DEP_1)
	;; [unrolled: 3-line block ×3, first 2 shown]
	v_add_nc_u16 v10, v10, v2
	v_add_nc_u16 v10, v10, v3
	s_waitcnt lgkmcnt(0)
	s_delay_alu instid0(VALU_DEP_1) | instskip(NEXT) | instid1(VALU_DEP_1)
	v_add_nc_u16 v10, v10, v11
	v_and_b32_e32 v11, 0xff, v10
	s_delay_alu instid0(VALU_DEP_1) | instskip(NEXT) | instid1(VALU_DEP_1)
	v_mov_b32_dpp v11, v11 quad_perm:[1,0,3,2] row_mask:0xf bank_mask:0xf
	v_add_nc_u16 v10, v10, v11
	s_delay_alu instid0(VALU_DEP_1) | instskip(NEXT) | instid1(VALU_DEP_1)
	v_and_b32_e32 v11, 0xff, v10
	v_mov_b32_dpp v11, v11 quad_perm:[2,3,0,1] row_mask:0xf bank_mask:0xf
	s_delay_alu instid0(VALU_DEP_1) | instskip(NEXT) | instid1(VALU_DEP_1)
	v_add_nc_u16 v10, v10, v11
	v_and_b32_e32 v11, 0xff, v10
	s_delay_alu instid0(VALU_DEP_1) | instskip(NEXT) | instid1(VALU_DEP_1)
	v_mov_b32_dpp v11, v11 row_ror:4 row_mask:0xf bank_mask:0xf
	v_add_nc_u16 v10, v10, v11
	s_delay_alu instid0(VALU_DEP_1) | instskip(NEXT) | instid1(VALU_DEP_1)
	v_and_b32_e32 v11, 0xff, v10
	v_mov_b32_dpp v11, v11 row_ror:8 row_mask:0xf bank_mask:0xf
	s_delay_alu instid0(VALU_DEP_1) | instskip(NEXT) | instid1(VALU_DEP_1)
	v_add_nc_u16 v10, v10, v11
	v_and_b32_e32 v11, 0xff, v10
	ds_swizzle_b32 v11, v11 offset:swizzle(BROADCAST,32,15)
	s_waitcnt lgkmcnt(0)
	v_add_nc_u16 v10, v10, v11
	s_delay_alu instid0(VALU_DEP_1)
	v_and_b32_e32 v10, 0xff, v10
	ds_bpermute_b32 v10, v5, v10
	s_waitcnt lgkmcnt(0)
	v_perm_b32 v6, v10, v6, 0x3020104
	s_cbranch_scc0 .LBB166_1
; %bb.2:
	s_mov_b32 s0, exec_lo
	v_cmpx_eq_u32_e32 0, v0
	s_cbranch_execz .LBB166_4
; %bb.3:
	v_mov_b32_e32 v0, s15
	global_store_b8 v0, v10, s[2:3]
.LBB166_4:
	s_nop 0
	s_sendmsg sendmsg(MSG_DEALLOC_VGPRS)
	s_endpgm
	.section	.rodata,"a",@progbits
	.p2align	6, 0x0
	.amdhsa_kernel _Z6kernelI6reduceILN6hipcub20BlockReduceAlgorithmE2EEaLj64ELj11ELj100EEvPKT0_PS4_
		.amdhsa_group_segment_fixed_size 64
		.amdhsa_private_segment_fixed_size 0
		.amdhsa_kernarg_size 272
		.amdhsa_user_sgpr_count 15
		.amdhsa_user_sgpr_dispatch_ptr 0
		.amdhsa_user_sgpr_queue_ptr 0
		.amdhsa_user_sgpr_kernarg_segment_ptr 1
		.amdhsa_user_sgpr_dispatch_id 0
		.amdhsa_user_sgpr_private_segment_size 0
		.amdhsa_wavefront_size32 1
		.amdhsa_uses_dynamic_stack 0
		.amdhsa_enable_private_segment 0
		.amdhsa_system_sgpr_workgroup_id_x 1
		.amdhsa_system_sgpr_workgroup_id_y 0
		.amdhsa_system_sgpr_workgroup_id_z 0
		.amdhsa_system_sgpr_workgroup_info 0
		.amdhsa_system_vgpr_workitem_id 0
		.amdhsa_next_free_vgpr 13
		.amdhsa_next_free_sgpr 16
		.amdhsa_reserve_vcc 0
		.amdhsa_float_round_mode_32 0
		.amdhsa_float_round_mode_16_64 0
		.amdhsa_float_denorm_mode_32 3
		.amdhsa_float_denorm_mode_16_64 3
		.amdhsa_dx10_clamp 1
		.amdhsa_ieee_mode 1
		.amdhsa_fp16_overflow 0
		.amdhsa_workgroup_processor_mode 1
		.amdhsa_memory_ordered 1
		.amdhsa_forward_progress 0
		.amdhsa_shared_vgpr_count 0
		.amdhsa_exception_fp_ieee_invalid_op 0
		.amdhsa_exception_fp_denorm_src 0
		.amdhsa_exception_fp_ieee_div_zero 0
		.amdhsa_exception_fp_ieee_overflow 0
		.amdhsa_exception_fp_ieee_underflow 0
		.amdhsa_exception_fp_ieee_inexact 0
		.amdhsa_exception_int_div_zero 0
	.end_amdhsa_kernel
	.section	.text._Z6kernelI6reduceILN6hipcub20BlockReduceAlgorithmE2EEaLj64ELj11ELj100EEvPKT0_PS4_,"axG",@progbits,_Z6kernelI6reduceILN6hipcub20BlockReduceAlgorithmE2EEaLj64ELj11ELj100EEvPKT0_PS4_,comdat
.Lfunc_end166:
	.size	_Z6kernelI6reduceILN6hipcub20BlockReduceAlgorithmE2EEaLj64ELj11ELj100EEvPKT0_PS4_, .Lfunc_end166-_Z6kernelI6reduceILN6hipcub20BlockReduceAlgorithmE2EEaLj64ELj11ELj100EEvPKT0_PS4_
                                        ; -- End function
	.section	.AMDGPU.csdata,"",@progbits
; Kernel info:
; codeLenInByte = 716
; NumSgprs: 16
; NumVgprs: 13
; ScratchSize: 0
; MemoryBound: 0
; FloatMode: 240
; IeeeMode: 1
; LDSByteSize: 64 bytes/workgroup (compile time only)
; SGPRBlocks: 1
; VGPRBlocks: 1
; NumSGPRsForWavesPerEU: 16
; NumVGPRsForWavesPerEU: 13
; Occupancy: 16
; WaveLimiterHint : 0
; COMPUTE_PGM_RSRC2:SCRATCH_EN: 0
; COMPUTE_PGM_RSRC2:USER_SGPR: 15
; COMPUTE_PGM_RSRC2:TRAP_HANDLER: 0
; COMPUTE_PGM_RSRC2:TGID_X_EN: 1
; COMPUTE_PGM_RSRC2:TGID_Y_EN: 0
; COMPUTE_PGM_RSRC2:TGID_Z_EN: 0
; COMPUTE_PGM_RSRC2:TIDIG_COMP_CNT: 0
	.section	.text._Z6kernelI6reduceILN6hipcub20BlockReduceAlgorithmE2EEaLj64ELj16ELj100EEvPKT0_PS4_,"axG",@progbits,_Z6kernelI6reduceILN6hipcub20BlockReduceAlgorithmE2EEaLj64ELj16ELj100EEvPKT0_PS4_,comdat
	.protected	_Z6kernelI6reduceILN6hipcub20BlockReduceAlgorithmE2EEaLj64ELj16ELj100EEvPKT0_PS4_ ; -- Begin function _Z6kernelI6reduceILN6hipcub20BlockReduceAlgorithmE2EEaLj64ELj16ELj100EEvPKT0_PS4_
	.globl	_Z6kernelI6reduceILN6hipcub20BlockReduceAlgorithmE2EEaLj64ELj16ELj100EEvPKT0_PS4_
	.p2align	8
	.type	_Z6kernelI6reduceILN6hipcub20BlockReduceAlgorithmE2EEaLj64ELj16ELj100EEvPKT0_PS4_,@function
_Z6kernelI6reduceILN6hipcub20BlockReduceAlgorithmE2EEaLj64ELj16ELj100EEvPKT0_PS4_: ; @_Z6kernelI6reduceILN6hipcub20BlockReduceAlgorithmE2EEaLj64ELj16ELj100EEvPKT0_PS4_
; %bb.0:
	s_clause 0x1
	s_load_b32 s4, s[0:1], 0x1c
	s_load_b128 s[0:3], s[0:1], 0x0
	v_mov_b32_e32 v5, 0x7c
	s_waitcnt lgkmcnt(0)
	s_and_b32 s4, s4, 0xffff
	s_delay_alu instid0(SALU_CYCLE_1) | instskip(NEXT) | instid1(SALU_CYCLE_1)
	s_mul_i32 s4, s15, s4
	v_add_lshl_u32 v1, s4, v0, 4
	global_load_b128 v[1:4], v1, s[0:1]
	s_movk_i32 s0, 0x64
	s_waitcnt vmcnt(0)
	v_lshrrev_b32_e32 v6, 8, v3
	v_lshrrev_b32_e32 v7, 16, v3
	;; [unrolled: 1-line block ×3, first 2 shown]
.LBB167_1:                              ; =>This Inner Loop Header: Depth=1
	s_delay_alu instid0(VALU_DEP_1) | instskip(SKIP_3) | instid1(VALU_DEP_3)
	v_lshrrev_b32_e32 v9, 8, v1
	v_lshrrev_b32_e32 v10, 16, v1
	;; [unrolled: 1-line block ×3, first 2 shown]
	s_barrier
	v_add_nc_u16 v9, v9, v1
	buffer_gl0_inv
	v_lshrrev_b32_e32 v12, 16, v4
	s_add_i32 s0, s0, -1
	s_delay_alu instid0(SALU_CYCLE_1) | instskip(SKIP_2) | instid1(VALU_DEP_2)
	s_cmp_eq_u32 s0, 0
	v_add_nc_u16 v9, v9, v10
	v_lshrrev_b32_e32 v10, 8, v2
	v_add_nc_u16 v9, v9, v11
	v_lshrrev_b32_e32 v11, 16, v2
	s_delay_alu instid0(VALU_DEP_2) | instskip(NEXT) | instid1(VALU_DEP_1)
	v_add_nc_u16 v9, v9, v2
	v_add_nc_u16 v9, v9, v10
	v_lshrrev_b32_e32 v10, 24, v2
	v_perm_b32 v2, v2, v2, 0x3060504
	s_delay_alu instid0(VALU_DEP_3) | instskip(SKIP_3) | instid1(VALU_DEP_2)
	v_add_nc_u16 v9, v9, v11
	ds_load_u8 v11, v0 offset:32
	v_add_nc_u16 v9, v9, v10
	v_lshrrev_b32_e32 v10, 8, v4
	v_add_nc_u16 v9, v9, v3
	s_delay_alu instid0(VALU_DEP_1) | instskip(NEXT) | instid1(VALU_DEP_1)
	v_add_nc_u16 v9, v9, v6
	v_add_nc_u16 v9, v9, v7
	s_delay_alu instid0(VALU_DEP_1) | instskip(NEXT) | instid1(VALU_DEP_1)
	v_add_nc_u16 v9, v9, v8
	v_add_nc_u16 v9, v9, v4
	s_delay_alu instid0(VALU_DEP_1) | instskip(SKIP_2) | instid1(VALU_DEP_3)
	v_add_nc_u16 v9, v9, v10
	v_lshrrev_b32_e32 v10, 24, v4
	v_perm_b32 v4, v4, v4, 0x3060504
	v_add_nc_u16 v9, v9, v12
	s_delay_alu instid0(VALU_DEP_1) | instskip(SKIP_1) | instid1(VALU_DEP_1)
	v_add_nc_u16 v9, v9, v10
	s_waitcnt lgkmcnt(0)
	v_add_nc_u16 v9, v9, v11
	s_delay_alu instid0(VALU_DEP_1) | instskip(NEXT) | instid1(VALU_DEP_1)
	v_and_b32_e32 v10, 0xff, v9
	v_mov_b32_dpp v10, v10 quad_perm:[1,0,3,2] row_mask:0xf bank_mask:0xf
	s_delay_alu instid0(VALU_DEP_1) | instskip(NEXT) | instid1(VALU_DEP_1)
	v_add_nc_u16 v9, v9, v10
	v_and_b32_e32 v10, 0xff, v9
	s_delay_alu instid0(VALU_DEP_1) | instskip(NEXT) | instid1(VALU_DEP_1)
	v_mov_b32_dpp v10, v10 quad_perm:[2,3,0,1] row_mask:0xf bank_mask:0xf
	v_add_nc_u16 v9, v9, v10
	s_delay_alu instid0(VALU_DEP_1) | instskip(NEXT) | instid1(VALU_DEP_1)
	v_and_b32_e32 v10, 0xff, v9
	v_mov_b32_dpp v10, v10 row_ror:4 row_mask:0xf bank_mask:0xf
	s_delay_alu instid0(VALU_DEP_1) | instskip(NEXT) | instid1(VALU_DEP_1)
	v_add_nc_u16 v9, v9, v10
	v_and_b32_e32 v10, 0xff, v9
	s_delay_alu instid0(VALU_DEP_1) | instskip(NEXT) | instid1(VALU_DEP_1)
	v_mov_b32_dpp v10, v10 row_ror:8 row_mask:0xf bank_mask:0xf
	v_add_nc_u16 v9, v9, v10
	s_delay_alu instid0(VALU_DEP_1) | instskip(SKIP_3) | instid1(VALU_DEP_1)
	v_and_b32_e32 v10, 0xff, v9
	ds_swizzle_b32 v10, v10 offset:swizzle(BROADCAST,32,15)
	s_waitcnt lgkmcnt(0)
	v_add_nc_u16 v9, v9, v10
	v_and_b32_e32 v9, 0xff, v9
	ds_bpermute_b32 v9, v5, v9
	s_waitcnt lgkmcnt(0)
	v_perm_b32 v1, v9, v1, 0x3020104
	s_cbranch_scc0 .LBB167_1
; %bb.2:
	s_mov_b32 s0, exec_lo
	v_cmpx_eq_u32_e32 0, v0
	s_cbranch_execz .LBB167_4
; %bb.3:
	v_mov_b32_e32 v0, s15
	global_store_b8 v0, v9, s[2:3]
.LBB167_4:
	s_nop 0
	s_sendmsg sendmsg(MSG_DEALLOC_VGPRS)
	s_endpgm
	.section	.rodata,"a",@progbits
	.p2align	6, 0x0
	.amdhsa_kernel _Z6kernelI6reduceILN6hipcub20BlockReduceAlgorithmE2EEaLj64ELj16ELj100EEvPKT0_PS4_
		.amdhsa_group_segment_fixed_size 64
		.amdhsa_private_segment_fixed_size 0
		.amdhsa_kernarg_size 272
		.amdhsa_user_sgpr_count 15
		.amdhsa_user_sgpr_dispatch_ptr 0
		.amdhsa_user_sgpr_queue_ptr 0
		.amdhsa_user_sgpr_kernarg_segment_ptr 1
		.amdhsa_user_sgpr_dispatch_id 0
		.amdhsa_user_sgpr_private_segment_size 0
		.amdhsa_wavefront_size32 1
		.amdhsa_uses_dynamic_stack 0
		.amdhsa_enable_private_segment 0
		.amdhsa_system_sgpr_workgroup_id_x 1
		.amdhsa_system_sgpr_workgroup_id_y 0
		.amdhsa_system_sgpr_workgroup_id_z 0
		.amdhsa_system_sgpr_workgroup_info 0
		.amdhsa_system_vgpr_workitem_id 0
		.amdhsa_next_free_vgpr 13
		.amdhsa_next_free_sgpr 16
		.amdhsa_reserve_vcc 0
		.amdhsa_float_round_mode_32 0
		.amdhsa_float_round_mode_16_64 0
		.amdhsa_float_denorm_mode_32 3
		.amdhsa_float_denorm_mode_16_64 3
		.amdhsa_dx10_clamp 1
		.amdhsa_ieee_mode 1
		.amdhsa_fp16_overflow 0
		.amdhsa_workgroup_processor_mode 1
		.amdhsa_memory_ordered 1
		.amdhsa_forward_progress 0
		.amdhsa_shared_vgpr_count 0
		.amdhsa_exception_fp_ieee_invalid_op 0
		.amdhsa_exception_fp_denorm_src 0
		.amdhsa_exception_fp_ieee_div_zero 0
		.amdhsa_exception_fp_ieee_overflow 0
		.amdhsa_exception_fp_ieee_underflow 0
		.amdhsa_exception_fp_ieee_inexact 0
		.amdhsa_exception_int_div_zero 0
	.end_amdhsa_kernel
	.section	.text._Z6kernelI6reduceILN6hipcub20BlockReduceAlgorithmE2EEaLj64ELj16ELj100EEvPKT0_PS4_,"axG",@progbits,_Z6kernelI6reduceILN6hipcub20BlockReduceAlgorithmE2EEaLj64ELj16ELj100EEvPKT0_PS4_,comdat
.Lfunc_end167:
	.size	_Z6kernelI6reduceILN6hipcub20BlockReduceAlgorithmE2EEaLj64ELj16ELj100EEvPKT0_PS4_, .Lfunc_end167-_Z6kernelI6reduceILN6hipcub20BlockReduceAlgorithmE2EEaLj64ELj16ELj100EEvPKT0_PS4_
                                        ; -- End function
	.section	.AMDGPU.csdata,"",@progbits
; Kernel info:
; codeLenInByte = 560
; NumSgprs: 16
; NumVgprs: 13
; ScratchSize: 0
; MemoryBound: 0
; FloatMode: 240
; IeeeMode: 1
; LDSByteSize: 64 bytes/workgroup (compile time only)
; SGPRBlocks: 1
; VGPRBlocks: 1
; NumSGPRsForWavesPerEU: 16
; NumVGPRsForWavesPerEU: 13
; Occupancy: 16
; WaveLimiterHint : 0
; COMPUTE_PGM_RSRC2:SCRATCH_EN: 0
; COMPUTE_PGM_RSRC2:USER_SGPR: 15
; COMPUTE_PGM_RSRC2:TRAP_HANDLER: 0
; COMPUTE_PGM_RSRC2:TGID_X_EN: 1
; COMPUTE_PGM_RSRC2:TGID_Y_EN: 0
; COMPUTE_PGM_RSRC2:TGID_Z_EN: 0
; COMPUTE_PGM_RSRC2:TIDIG_COMP_CNT: 0
	.section	.text._Z6kernelI6reduceILN6hipcub20BlockReduceAlgorithmE2EEhLj64ELj1ELj100EEvPKT0_PS4_,"axG",@progbits,_Z6kernelI6reduceILN6hipcub20BlockReduceAlgorithmE2EEhLj64ELj1ELj100EEvPKT0_PS4_,comdat
	.protected	_Z6kernelI6reduceILN6hipcub20BlockReduceAlgorithmE2EEhLj64ELj1ELj100EEvPKT0_PS4_ ; -- Begin function _Z6kernelI6reduceILN6hipcub20BlockReduceAlgorithmE2EEhLj64ELj1ELj100EEvPKT0_PS4_
	.globl	_Z6kernelI6reduceILN6hipcub20BlockReduceAlgorithmE2EEhLj64ELj1ELj100EEvPKT0_PS4_
	.p2align	8
	.type	_Z6kernelI6reduceILN6hipcub20BlockReduceAlgorithmE2EEhLj64ELj1ELj100EEvPKT0_PS4_,@function
_Z6kernelI6reduceILN6hipcub20BlockReduceAlgorithmE2EEhLj64ELj1ELj100EEvPKT0_PS4_: ; @_Z6kernelI6reduceILN6hipcub20BlockReduceAlgorithmE2EEhLj64ELj1ELj100EEvPKT0_PS4_
; %bb.0:
	s_clause 0x1
	s_load_b32 s4, s[0:1], 0x1c
	s_load_b128 s[0:3], s[0:1], 0x0
	s_waitcnt lgkmcnt(0)
	s_and_b32 s4, s4, 0xffff
	s_delay_alu instid0(SALU_CYCLE_1)
	v_mad_u64_u32 v[1:2], null, s15, s4, v[0:1]
	global_load_u8 v2, v1, s[0:1]
	v_mov_b32_e32 v1, 0x7c
	s_movk_i32 s0, 0x64
	s_set_inst_prefetch_distance 0x1
	.p2align	6
.LBB168_1:                              ; =>This Inner Loop Header: Depth=1
	s_waitcnt vmcnt(0) lgkmcnt(0)
	s_barrier
	buffer_gl0_inv
	ds_load_u8 v3, v0 offset:32
	s_add_i32 s0, s0, -1
	s_delay_alu instid0(SALU_CYCLE_1) | instskip(SKIP_2) | instid1(VALU_DEP_1)
	s_cmp_eq_u32 s0, 0
	s_waitcnt lgkmcnt(0)
	v_add_nc_u16 v2, v3, v2
	v_and_b32_e32 v3, 0xff, v2
	s_delay_alu instid0(VALU_DEP_1) | instskip(NEXT) | instid1(VALU_DEP_1)
	v_mov_b32_dpp v3, v3 quad_perm:[1,0,3,2] row_mask:0xf bank_mask:0xf
	v_add_nc_u16 v2, v2, v3
	s_delay_alu instid0(VALU_DEP_1) | instskip(NEXT) | instid1(VALU_DEP_1)
	v_and_b32_e32 v3, 0xff, v2
	v_mov_b32_dpp v3, v3 quad_perm:[2,3,0,1] row_mask:0xf bank_mask:0xf
	s_delay_alu instid0(VALU_DEP_1) | instskip(NEXT) | instid1(VALU_DEP_1)
	v_add_nc_u16 v2, v2, v3
	v_and_b32_e32 v3, 0xff, v2
	s_delay_alu instid0(VALU_DEP_1) | instskip(NEXT) | instid1(VALU_DEP_1)
	v_mov_b32_dpp v3, v3 row_ror:4 row_mask:0xf bank_mask:0xf
	v_add_nc_u16 v2, v2, v3
	s_delay_alu instid0(VALU_DEP_1) | instskip(NEXT) | instid1(VALU_DEP_1)
	v_and_b32_e32 v3, 0xff, v2
	v_mov_b32_dpp v3, v3 row_ror:8 row_mask:0xf bank_mask:0xf
	s_delay_alu instid0(VALU_DEP_1) | instskip(NEXT) | instid1(VALU_DEP_1)
	v_add_nc_u16 v2, v2, v3
	v_and_b32_e32 v3, 0xff, v2
	ds_swizzle_b32 v3, v3 offset:swizzle(BROADCAST,32,15)
	s_waitcnt lgkmcnt(0)
	v_add_nc_u16 v2, v2, v3
	s_delay_alu instid0(VALU_DEP_1)
	v_and_b32_e32 v2, 0xff, v2
	ds_bpermute_b32 v2, v1, v2
	s_cbranch_scc0 .LBB168_1
; %bb.2:
	s_set_inst_prefetch_distance 0x2
	s_mov_b32 s0, exec_lo
	v_cmpx_eq_u32_e32 0, v0
	s_cbranch_execz .LBB168_4
; %bb.3:
	v_mov_b32_e32 v0, s15
	s_waitcnt lgkmcnt(0)
	global_store_b8 v0, v2, s[2:3]
.LBB168_4:
	s_nop 0
	s_sendmsg sendmsg(MSG_DEALLOC_VGPRS)
	s_endpgm
	.section	.rodata,"a",@progbits
	.p2align	6, 0x0
	.amdhsa_kernel _Z6kernelI6reduceILN6hipcub20BlockReduceAlgorithmE2EEhLj64ELj1ELj100EEvPKT0_PS4_
		.amdhsa_group_segment_fixed_size 64
		.amdhsa_private_segment_fixed_size 0
		.amdhsa_kernarg_size 272
		.amdhsa_user_sgpr_count 15
		.amdhsa_user_sgpr_dispatch_ptr 0
		.amdhsa_user_sgpr_queue_ptr 0
		.amdhsa_user_sgpr_kernarg_segment_ptr 1
		.amdhsa_user_sgpr_dispatch_id 0
		.amdhsa_user_sgpr_private_segment_size 0
		.amdhsa_wavefront_size32 1
		.amdhsa_uses_dynamic_stack 0
		.amdhsa_enable_private_segment 0
		.amdhsa_system_sgpr_workgroup_id_x 1
		.amdhsa_system_sgpr_workgroup_id_y 0
		.amdhsa_system_sgpr_workgroup_id_z 0
		.amdhsa_system_sgpr_workgroup_info 0
		.amdhsa_system_vgpr_workitem_id 0
		.amdhsa_next_free_vgpr 4
		.amdhsa_next_free_sgpr 16
		.amdhsa_reserve_vcc 0
		.amdhsa_float_round_mode_32 0
		.amdhsa_float_round_mode_16_64 0
		.amdhsa_float_denorm_mode_32 3
		.amdhsa_float_denorm_mode_16_64 3
		.amdhsa_dx10_clamp 1
		.amdhsa_ieee_mode 1
		.amdhsa_fp16_overflow 0
		.amdhsa_workgroup_processor_mode 1
		.amdhsa_memory_ordered 1
		.amdhsa_forward_progress 0
		.amdhsa_shared_vgpr_count 0
		.amdhsa_exception_fp_ieee_invalid_op 0
		.amdhsa_exception_fp_denorm_src 0
		.amdhsa_exception_fp_ieee_div_zero 0
		.amdhsa_exception_fp_ieee_overflow 0
		.amdhsa_exception_fp_ieee_underflow 0
		.amdhsa_exception_fp_ieee_inexact 0
		.amdhsa_exception_int_div_zero 0
	.end_amdhsa_kernel
	.section	.text._Z6kernelI6reduceILN6hipcub20BlockReduceAlgorithmE2EEhLj64ELj1ELj100EEvPKT0_PS4_,"axG",@progbits,_Z6kernelI6reduceILN6hipcub20BlockReduceAlgorithmE2EEhLj64ELj1ELj100EEvPKT0_PS4_,comdat
.Lfunc_end168:
	.size	_Z6kernelI6reduceILN6hipcub20BlockReduceAlgorithmE2EEhLj64ELj1ELj100EEvPKT0_PS4_, .Lfunc_end168-_Z6kernelI6reduceILN6hipcub20BlockReduceAlgorithmE2EEhLj64ELj1ELj100EEvPKT0_PS4_
                                        ; -- End function
	.section	.AMDGPU.csdata,"",@progbits
; Kernel info:
; codeLenInByte = 332
; NumSgprs: 16
; NumVgprs: 4
; ScratchSize: 0
; MemoryBound: 0
; FloatMode: 240
; IeeeMode: 1
; LDSByteSize: 64 bytes/workgroup (compile time only)
; SGPRBlocks: 1
; VGPRBlocks: 0
; NumSGPRsForWavesPerEU: 16
; NumVGPRsForWavesPerEU: 4
; Occupancy: 16
; WaveLimiterHint : 0
; COMPUTE_PGM_RSRC2:SCRATCH_EN: 0
; COMPUTE_PGM_RSRC2:USER_SGPR: 15
; COMPUTE_PGM_RSRC2:TRAP_HANDLER: 0
; COMPUTE_PGM_RSRC2:TGID_X_EN: 1
; COMPUTE_PGM_RSRC2:TGID_Y_EN: 0
; COMPUTE_PGM_RSRC2:TGID_Z_EN: 0
; COMPUTE_PGM_RSRC2:TIDIG_COMP_CNT: 0
	.section	.text._Z6kernelI6reduceILN6hipcub20BlockReduceAlgorithmE2EEhLj64ELj2ELj100EEvPKT0_PS4_,"axG",@progbits,_Z6kernelI6reduceILN6hipcub20BlockReduceAlgorithmE2EEhLj64ELj2ELj100EEvPKT0_PS4_,comdat
	.protected	_Z6kernelI6reduceILN6hipcub20BlockReduceAlgorithmE2EEhLj64ELj2ELj100EEvPKT0_PS4_ ; -- Begin function _Z6kernelI6reduceILN6hipcub20BlockReduceAlgorithmE2EEhLj64ELj2ELj100EEvPKT0_PS4_
	.globl	_Z6kernelI6reduceILN6hipcub20BlockReduceAlgorithmE2EEhLj64ELj2ELj100EEvPKT0_PS4_
	.p2align	8
	.type	_Z6kernelI6reduceILN6hipcub20BlockReduceAlgorithmE2EEhLj64ELj2ELj100EEvPKT0_PS4_,@function
_Z6kernelI6reduceILN6hipcub20BlockReduceAlgorithmE2EEhLj64ELj2ELj100EEvPKT0_PS4_: ; @_Z6kernelI6reduceILN6hipcub20BlockReduceAlgorithmE2EEhLj64ELj2ELj100EEvPKT0_PS4_
; %bb.0:
	s_clause 0x1
	s_load_b32 s4, s[0:1], 0x1c
	s_load_b128 s[0:3], s[0:1], 0x0
	s_waitcnt lgkmcnt(0)
	s_and_b32 s4, s4, 0xffff
	s_delay_alu instid0(SALU_CYCLE_1) | instskip(NEXT) | instid1(SALU_CYCLE_1)
	s_mul_i32 s4, s15, s4
	v_add_lshl_u32 v1, s4, v0, 1
	global_load_u16 v2, v1, s[0:1]
	v_mov_b32_e32 v1, 0x7c
	s_movk_i32 s0, 0x64
.LBB169_1:                              ; =>This Inner Loop Header: Depth=1
	s_waitcnt vmcnt(0)
	s_barrier
	buffer_gl0_inv
	ds_load_u8 v3, v0 offset:32
	v_lshrrev_b16 v4, 8, v2
	s_add_i32 s0, s0, -1
	s_delay_alu instid0(SALU_CYCLE_1) | instskip(NEXT) | instid1(VALU_DEP_1)
	s_cmp_eq_u32 s0, 0
	v_add_nc_u16 v4, v4, v2
	v_and_b32_e32 v2, 0xffffff00, v2
	s_waitcnt lgkmcnt(0)
	s_delay_alu instid0(VALU_DEP_2) | instskip(NEXT) | instid1(VALU_DEP_1)
	v_add_nc_u16 v3, v4, v3
	v_and_b32_e32 v4, 0xff, v3
	s_delay_alu instid0(VALU_DEP_1) | instskip(NEXT) | instid1(VALU_DEP_1)
	v_mov_b32_dpp v4, v4 quad_perm:[1,0,3,2] row_mask:0xf bank_mask:0xf
	v_add_nc_u16 v3, v3, v4
	s_delay_alu instid0(VALU_DEP_1) | instskip(NEXT) | instid1(VALU_DEP_1)
	v_and_b32_e32 v4, 0xff, v3
	v_mov_b32_dpp v4, v4 quad_perm:[2,3,0,1] row_mask:0xf bank_mask:0xf
	s_delay_alu instid0(VALU_DEP_1) | instskip(NEXT) | instid1(VALU_DEP_1)
	v_add_nc_u16 v3, v3, v4
	v_and_b32_e32 v4, 0xff, v3
	s_delay_alu instid0(VALU_DEP_1) | instskip(NEXT) | instid1(VALU_DEP_1)
	v_mov_b32_dpp v4, v4 row_ror:4 row_mask:0xf bank_mask:0xf
	v_add_nc_u16 v3, v3, v4
	s_delay_alu instid0(VALU_DEP_1) | instskip(NEXT) | instid1(VALU_DEP_1)
	v_and_b32_e32 v4, 0xff, v3
	v_mov_b32_dpp v4, v4 row_ror:8 row_mask:0xf bank_mask:0xf
	s_delay_alu instid0(VALU_DEP_1) | instskip(NEXT) | instid1(VALU_DEP_1)
	v_add_nc_u16 v3, v3, v4
	v_and_b32_e32 v4, 0xff, v3
	ds_swizzle_b32 v4, v4 offset:swizzle(BROADCAST,32,15)
	s_waitcnt lgkmcnt(0)
	v_add_nc_u16 v3, v3, v4
	s_delay_alu instid0(VALU_DEP_1) | instskip(SKIP_3) | instid1(VALU_DEP_1)
	v_and_b32_e32 v3, 0xff, v3
	ds_bpermute_b32 v3, v1, v3
	s_waitcnt lgkmcnt(0)
	v_and_b32_e32 v4, 0xff, v3
	v_or_b32_e32 v2, v4, v2
	s_delay_alu instid0(VALU_DEP_1)
	v_and_b32_e32 v2, 0xffff, v2
	s_cbranch_scc0 .LBB169_1
; %bb.2:
	s_mov_b32 s0, exec_lo
	v_cmpx_eq_u32_e32 0, v0
	s_cbranch_execz .LBB169_4
; %bb.3:
	v_mov_b32_e32 v0, s15
	global_store_b8 v0, v3, s[2:3]
.LBB169_4:
	s_nop 0
	s_sendmsg sendmsg(MSG_DEALLOC_VGPRS)
	s_endpgm
	.section	.rodata,"a",@progbits
	.p2align	6, 0x0
	.amdhsa_kernel _Z6kernelI6reduceILN6hipcub20BlockReduceAlgorithmE2EEhLj64ELj2ELj100EEvPKT0_PS4_
		.amdhsa_group_segment_fixed_size 64
		.amdhsa_private_segment_fixed_size 0
		.amdhsa_kernarg_size 272
		.amdhsa_user_sgpr_count 15
		.amdhsa_user_sgpr_dispatch_ptr 0
		.amdhsa_user_sgpr_queue_ptr 0
		.amdhsa_user_sgpr_kernarg_segment_ptr 1
		.amdhsa_user_sgpr_dispatch_id 0
		.amdhsa_user_sgpr_private_segment_size 0
		.amdhsa_wavefront_size32 1
		.amdhsa_uses_dynamic_stack 0
		.amdhsa_enable_private_segment 0
		.amdhsa_system_sgpr_workgroup_id_x 1
		.amdhsa_system_sgpr_workgroup_id_y 0
		.amdhsa_system_sgpr_workgroup_id_z 0
		.amdhsa_system_sgpr_workgroup_info 0
		.amdhsa_system_vgpr_workitem_id 0
		.amdhsa_next_free_vgpr 5
		.amdhsa_next_free_sgpr 16
		.amdhsa_reserve_vcc 0
		.amdhsa_float_round_mode_32 0
		.amdhsa_float_round_mode_16_64 0
		.amdhsa_float_denorm_mode_32 3
		.amdhsa_float_denorm_mode_16_64 3
		.amdhsa_dx10_clamp 1
		.amdhsa_ieee_mode 1
		.amdhsa_fp16_overflow 0
		.amdhsa_workgroup_processor_mode 1
		.amdhsa_memory_ordered 1
		.amdhsa_forward_progress 0
		.amdhsa_shared_vgpr_count 0
		.amdhsa_exception_fp_ieee_invalid_op 0
		.amdhsa_exception_fp_denorm_src 0
		.amdhsa_exception_fp_ieee_div_zero 0
		.amdhsa_exception_fp_ieee_overflow 0
		.amdhsa_exception_fp_ieee_underflow 0
		.amdhsa_exception_fp_ieee_inexact 0
		.amdhsa_exception_int_div_zero 0
	.end_amdhsa_kernel
	.section	.text._Z6kernelI6reduceILN6hipcub20BlockReduceAlgorithmE2EEhLj64ELj2ELj100EEvPKT0_PS4_,"axG",@progbits,_Z6kernelI6reduceILN6hipcub20BlockReduceAlgorithmE2EEhLj64ELj2ELj100EEvPKT0_PS4_,comdat
.Lfunc_end169:
	.size	_Z6kernelI6reduceILN6hipcub20BlockReduceAlgorithmE2EEhLj64ELj2ELj100EEvPKT0_PS4_, .Lfunc_end169-_Z6kernelI6reduceILN6hipcub20BlockReduceAlgorithmE2EEhLj64ELj2ELj100EEvPKT0_PS4_
                                        ; -- End function
	.section	.AMDGPU.csdata,"",@progbits
; Kernel info:
; codeLenInByte = 380
; NumSgprs: 16
; NumVgprs: 5
; ScratchSize: 0
; MemoryBound: 0
; FloatMode: 240
; IeeeMode: 1
; LDSByteSize: 64 bytes/workgroup (compile time only)
; SGPRBlocks: 1
; VGPRBlocks: 0
; NumSGPRsForWavesPerEU: 16
; NumVGPRsForWavesPerEU: 5
; Occupancy: 16
; WaveLimiterHint : 0
; COMPUTE_PGM_RSRC2:SCRATCH_EN: 0
; COMPUTE_PGM_RSRC2:USER_SGPR: 15
; COMPUTE_PGM_RSRC2:TRAP_HANDLER: 0
; COMPUTE_PGM_RSRC2:TGID_X_EN: 1
; COMPUTE_PGM_RSRC2:TGID_Y_EN: 0
; COMPUTE_PGM_RSRC2:TGID_Z_EN: 0
; COMPUTE_PGM_RSRC2:TIDIG_COMP_CNT: 0
	.section	.text._Z6kernelI6reduceILN6hipcub20BlockReduceAlgorithmE2EEhLj64ELj3ELj100EEvPKT0_PS4_,"axG",@progbits,_Z6kernelI6reduceILN6hipcub20BlockReduceAlgorithmE2EEhLj64ELj3ELj100EEvPKT0_PS4_,comdat
	.protected	_Z6kernelI6reduceILN6hipcub20BlockReduceAlgorithmE2EEhLj64ELj3ELj100EEvPKT0_PS4_ ; -- Begin function _Z6kernelI6reduceILN6hipcub20BlockReduceAlgorithmE2EEhLj64ELj3ELj100EEvPKT0_PS4_
	.globl	_Z6kernelI6reduceILN6hipcub20BlockReduceAlgorithmE2EEhLj64ELj3ELj100EEvPKT0_PS4_
	.p2align	8
	.type	_Z6kernelI6reduceILN6hipcub20BlockReduceAlgorithmE2EEhLj64ELj3ELj100EEvPKT0_PS4_,@function
_Z6kernelI6reduceILN6hipcub20BlockReduceAlgorithmE2EEhLj64ELj3ELj100EEvPKT0_PS4_: ; @_Z6kernelI6reduceILN6hipcub20BlockReduceAlgorithmE2EEhLj64ELj3ELj100EEvPKT0_PS4_
; %bb.0:
	s_clause 0x1
	s_load_b32 s4, s[0:1], 0x1c
	s_load_b128 s[0:3], s[0:1], 0x0
	s_waitcnt lgkmcnt(0)
	s_and_b32 s4, s4, 0xffff
	s_delay_alu instid0(SALU_CYCLE_1) | instskip(NEXT) | instid1(VALU_DEP_1)
	v_mad_u64_u32 v[1:2], null, s15, s4, v[0:1]
	v_lshl_add_u32 v1, v1, 1, v1
	s_delay_alu instid0(VALU_DEP_1)
	v_add_nc_u32_e32 v2, 1, v1
	s_clause 0x1
	global_load_u8 v2, v2, s[0:1]
	global_load_u8 v3, v1, s[0:1]
	v_add_nc_u32_e32 v1, 2, v1
	global_load_u8 v1, v1, s[0:1]
	s_movk_i32 s0, 0x64
	s_waitcnt vmcnt(2)
	v_lshlrev_b16 v2, 8, v2
	s_waitcnt vmcnt(1)
	s_delay_alu instid0(VALU_DEP_1) | instskip(NEXT) | instid1(VALU_DEP_1)
	v_or_b32_e32 v2, v3, v2
	v_and_b32_e32 v2, 0xffff, v2
	s_waitcnt vmcnt(0)
	s_delay_alu instid0(VALU_DEP_1)
	v_lshl_or_b32 v1, v1, 16, v2
	v_mov_b32_e32 v2, 0x7c
.LBB170_1:                              ; =>This Inner Loop Header: Depth=1
	s_barrier
	buffer_gl0_inv
	ds_load_u8 v3, v0 offset:32
	v_lshrrev_b32_e32 v4, 8, v1
	v_lshrrev_b32_e32 v5, 16, v1
	s_add_i32 s0, s0, -1
	s_delay_alu instid0(SALU_CYCLE_1) | instskip(NEXT) | instid1(VALU_DEP_2)
	s_cmp_eq_u32 s0, 0
	v_add_nc_u16 v6, v4, v1
	v_lshlrev_b16 v4, 8, v4
	s_delay_alu instid0(VALU_DEP_2) | instskip(SKIP_1) | instid1(VALU_DEP_1)
	v_add_nc_u16 v5, v6, v5
	s_waitcnt lgkmcnt(0)
	v_add_nc_u16 v3, v5, v3
	s_delay_alu instid0(VALU_DEP_1) | instskip(NEXT) | instid1(VALU_DEP_1)
	v_and_b32_e32 v5, 0xff, v3
	v_mov_b32_dpp v5, v5 quad_perm:[1,0,3,2] row_mask:0xf bank_mask:0xf
	s_delay_alu instid0(VALU_DEP_1) | instskip(NEXT) | instid1(VALU_DEP_1)
	v_add_nc_u16 v3, v3, v5
	v_and_b32_e32 v5, 0xff, v3
	s_delay_alu instid0(VALU_DEP_1) | instskip(NEXT) | instid1(VALU_DEP_1)
	v_mov_b32_dpp v5, v5 quad_perm:[2,3,0,1] row_mask:0xf bank_mask:0xf
	v_add_nc_u16 v3, v3, v5
	s_delay_alu instid0(VALU_DEP_1) | instskip(NEXT) | instid1(VALU_DEP_1)
	v_and_b32_e32 v5, 0xff, v3
	v_mov_b32_dpp v5, v5 row_ror:4 row_mask:0xf bank_mask:0xf
	s_delay_alu instid0(VALU_DEP_1) | instskip(NEXT) | instid1(VALU_DEP_1)
	v_add_nc_u16 v3, v3, v5
	v_and_b32_e32 v5, 0xff, v3
	s_delay_alu instid0(VALU_DEP_1) | instskip(NEXT) | instid1(VALU_DEP_1)
	v_mov_b32_dpp v5, v5 row_ror:8 row_mask:0xf bank_mask:0xf
	v_add_nc_u16 v3, v3, v5
	s_delay_alu instid0(VALU_DEP_1) | instskip(SKIP_3) | instid1(VALU_DEP_1)
	v_and_b32_e32 v5, 0xff, v3
	ds_swizzle_b32 v5, v5 offset:swizzle(BROADCAST,32,15)
	s_waitcnt lgkmcnt(0)
	v_add_nc_u16 v3, v3, v5
	v_and_b32_e32 v3, 0xff, v3
	ds_bpermute_b32 v3, v2, v3
	s_waitcnt lgkmcnt(0)
	v_and_b32_e32 v5, 0xff, v3
	s_delay_alu instid0(VALU_DEP_1) | instskip(NEXT) | instid1(VALU_DEP_1)
	v_or_b32_e32 v4, v5, v4
	v_and_b32_e32 v4, 0xffff, v4
	s_delay_alu instid0(VALU_DEP_1)
	v_and_or_b32 v1, 0xff0000, v1, v4
	s_cbranch_scc0 .LBB170_1
; %bb.2:
	s_mov_b32 s0, exec_lo
	v_cmpx_eq_u32_e32 0, v0
	s_cbranch_execz .LBB170_4
; %bb.3:
	v_mov_b32_e32 v0, s15
	global_store_b8 v0, v3, s[2:3]
.LBB170_4:
	s_nop 0
	s_sendmsg sendmsg(MSG_DEALLOC_VGPRS)
	s_endpgm
	.section	.rodata,"a",@progbits
	.p2align	6, 0x0
	.amdhsa_kernel _Z6kernelI6reduceILN6hipcub20BlockReduceAlgorithmE2EEhLj64ELj3ELj100EEvPKT0_PS4_
		.amdhsa_group_segment_fixed_size 64
		.amdhsa_private_segment_fixed_size 0
		.amdhsa_kernarg_size 272
		.amdhsa_user_sgpr_count 15
		.amdhsa_user_sgpr_dispatch_ptr 0
		.amdhsa_user_sgpr_queue_ptr 0
		.amdhsa_user_sgpr_kernarg_segment_ptr 1
		.amdhsa_user_sgpr_dispatch_id 0
		.amdhsa_user_sgpr_private_segment_size 0
		.amdhsa_wavefront_size32 1
		.amdhsa_uses_dynamic_stack 0
		.amdhsa_enable_private_segment 0
		.amdhsa_system_sgpr_workgroup_id_x 1
		.amdhsa_system_sgpr_workgroup_id_y 0
		.amdhsa_system_sgpr_workgroup_id_z 0
		.amdhsa_system_sgpr_workgroup_info 0
		.amdhsa_system_vgpr_workitem_id 0
		.amdhsa_next_free_vgpr 7
		.amdhsa_next_free_sgpr 16
		.amdhsa_reserve_vcc 0
		.amdhsa_float_round_mode_32 0
		.amdhsa_float_round_mode_16_64 0
		.amdhsa_float_denorm_mode_32 3
		.amdhsa_float_denorm_mode_16_64 3
		.amdhsa_dx10_clamp 1
		.amdhsa_ieee_mode 1
		.amdhsa_fp16_overflow 0
		.amdhsa_workgroup_processor_mode 1
		.amdhsa_memory_ordered 1
		.amdhsa_forward_progress 0
		.amdhsa_shared_vgpr_count 0
		.amdhsa_exception_fp_ieee_invalid_op 0
		.amdhsa_exception_fp_denorm_src 0
		.amdhsa_exception_fp_ieee_div_zero 0
		.amdhsa_exception_fp_ieee_overflow 0
		.amdhsa_exception_fp_ieee_underflow 0
		.amdhsa_exception_fp_ieee_inexact 0
		.amdhsa_exception_int_div_zero 0
	.end_amdhsa_kernel
	.section	.text._Z6kernelI6reduceILN6hipcub20BlockReduceAlgorithmE2EEhLj64ELj3ELj100EEvPKT0_PS4_,"axG",@progbits,_Z6kernelI6reduceILN6hipcub20BlockReduceAlgorithmE2EEhLj64ELj3ELj100EEvPKT0_PS4_,comdat
.Lfunc_end170:
	.size	_Z6kernelI6reduceILN6hipcub20BlockReduceAlgorithmE2EEhLj64ELj3ELj100EEvPKT0_PS4_, .Lfunc_end170-_Z6kernelI6reduceILN6hipcub20BlockReduceAlgorithmE2EEhLj64ELj3ELj100EEvPKT0_PS4_
                                        ; -- End function
	.section	.AMDGPU.csdata,"",@progbits
; Kernel info:
; codeLenInByte = 484
; NumSgprs: 16
; NumVgprs: 7
; ScratchSize: 0
; MemoryBound: 0
; FloatMode: 240
; IeeeMode: 1
; LDSByteSize: 64 bytes/workgroup (compile time only)
; SGPRBlocks: 1
; VGPRBlocks: 0
; NumSGPRsForWavesPerEU: 16
; NumVGPRsForWavesPerEU: 7
; Occupancy: 16
; WaveLimiterHint : 0
; COMPUTE_PGM_RSRC2:SCRATCH_EN: 0
; COMPUTE_PGM_RSRC2:USER_SGPR: 15
; COMPUTE_PGM_RSRC2:TRAP_HANDLER: 0
; COMPUTE_PGM_RSRC2:TGID_X_EN: 1
; COMPUTE_PGM_RSRC2:TGID_Y_EN: 0
; COMPUTE_PGM_RSRC2:TGID_Z_EN: 0
; COMPUTE_PGM_RSRC2:TIDIG_COMP_CNT: 0
	.section	.text._Z6kernelI6reduceILN6hipcub20BlockReduceAlgorithmE2EEhLj64ELj4ELj100EEvPKT0_PS4_,"axG",@progbits,_Z6kernelI6reduceILN6hipcub20BlockReduceAlgorithmE2EEhLj64ELj4ELj100EEvPKT0_PS4_,comdat
	.protected	_Z6kernelI6reduceILN6hipcub20BlockReduceAlgorithmE2EEhLj64ELj4ELj100EEvPKT0_PS4_ ; -- Begin function _Z6kernelI6reduceILN6hipcub20BlockReduceAlgorithmE2EEhLj64ELj4ELj100EEvPKT0_PS4_
	.globl	_Z6kernelI6reduceILN6hipcub20BlockReduceAlgorithmE2EEhLj64ELj4ELj100EEvPKT0_PS4_
	.p2align	8
	.type	_Z6kernelI6reduceILN6hipcub20BlockReduceAlgorithmE2EEhLj64ELj4ELj100EEvPKT0_PS4_,@function
_Z6kernelI6reduceILN6hipcub20BlockReduceAlgorithmE2EEhLj64ELj4ELj100EEvPKT0_PS4_: ; @_Z6kernelI6reduceILN6hipcub20BlockReduceAlgorithmE2EEhLj64ELj4ELj100EEvPKT0_PS4_
; %bb.0:
	s_clause 0x1
	s_load_b32 s4, s[0:1], 0x1c
	s_load_b128 s[0:3], s[0:1], 0x0
	v_mov_b32_e32 v2, 0x7c
	s_waitcnt lgkmcnt(0)
	s_and_b32 s4, s4, 0xffff
	s_delay_alu instid0(SALU_CYCLE_1) | instskip(NEXT) | instid1(SALU_CYCLE_1)
	s_mul_i32 s4, s15, s4
	v_add_lshl_u32 v1, s4, v0, 2
	global_load_b32 v1, v1, s[0:1]
	s_movk_i32 s0, 0x64
.LBB171_1:                              ; =>This Inner Loop Header: Depth=1
	s_waitcnt vmcnt(0)
	s_delay_alu instid0(VALU_DEP_1)
	v_lshrrev_b32_e32 v3, 8, v1
	s_barrier
	buffer_gl0_inv
	ds_load_u8 v4, v0 offset:32
	v_lshrrev_b32_e32 v5, 16, v1
	v_add_nc_u16 v3, v3, v1
	v_lshrrev_b32_e32 v6, 24, v1
	s_add_i32 s0, s0, -1
	s_delay_alu instid0(SALU_CYCLE_1) | instskip(NEXT) | instid1(VALU_DEP_2)
	s_cmp_eq_u32 s0, 0
	v_add_nc_u16 v3, v3, v5
	s_delay_alu instid0(VALU_DEP_1) | instskip(SKIP_1) | instid1(VALU_DEP_1)
	v_add_nc_u16 v3, v3, v6
	s_waitcnt lgkmcnt(0)
	v_add_nc_u16 v3, v3, v4
	s_delay_alu instid0(VALU_DEP_1) | instskip(NEXT) | instid1(VALU_DEP_1)
	v_and_b32_e32 v4, 0xff, v3
	v_mov_b32_dpp v4, v4 quad_perm:[1,0,3,2] row_mask:0xf bank_mask:0xf
	s_delay_alu instid0(VALU_DEP_1) | instskip(NEXT) | instid1(VALU_DEP_1)
	v_add_nc_u16 v3, v3, v4
	v_and_b32_e32 v4, 0xff, v3
	s_delay_alu instid0(VALU_DEP_1) | instskip(NEXT) | instid1(VALU_DEP_1)
	v_mov_b32_dpp v4, v4 quad_perm:[2,3,0,1] row_mask:0xf bank_mask:0xf
	v_add_nc_u16 v3, v3, v4
	s_delay_alu instid0(VALU_DEP_1) | instskip(NEXT) | instid1(VALU_DEP_1)
	v_and_b32_e32 v4, 0xff, v3
	v_mov_b32_dpp v4, v4 row_ror:4 row_mask:0xf bank_mask:0xf
	s_delay_alu instid0(VALU_DEP_1) | instskip(NEXT) | instid1(VALU_DEP_1)
	v_add_nc_u16 v3, v3, v4
	v_and_b32_e32 v4, 0xff, v3
	s_delay_alu instid0(VALU_DEP_1) | instskip(NEXT) | instid1(VALU_DEP_1)
	v_mov_b32_dpp v4, v4 row_ror:8 row_mask:0xf bank_mask:0xf
	v_add_nc_u16 v3, v3, v4
	s_delay_alu instid0(VALU_DEP_1) | instskip(SKIP_3) | instid1(VALU_DEP_1)
	v_and_b32_e32 v4, 0xff, v3
	ds_swizzle_b32 v4, v4 offset:swizzle(BROADCAST,32,15)
	s_waitcnt lgkmcnt(0)
	v_add_nc_u16 v3, v3, v4
	v_and_b32_e32 v3, 0xff, v3
	ds_bpermute_b32 v3, v2, v3
	s_waitcnt lgkmcnt(0)
	v_perm_b32 v1, v3, v1, 0x3020104
	s_cbranch_scc0 .LBB171_1
; %bb.2:
	s_mov_b32 s0, exec_lo
	v_cmpx_eq_u32_e32 0, v0
	s_cbranch_execz .LBB171_4
; %bb.3:
	v_mov_b32_e32 v0, s15
	global_store_b8 v0, v3, s[2:3]
.LBB171_4:
	s_nop 0
	s_sendmsg sendmsg(MSG_DEALLOC_VGPRS)
	s_endpgm
	.section	.rodata,"a",@progbits
	.p2align	6, 0x0
	.amdhsa_kernel _Z6kernelI6reduceILN6hipcub20BlockReduceAlgorithmE2EEhLj64ELj4ELj100EEvPKT0_PS4_
		.amdhsa_group_segment_fixed_size 64
		.amdhsa_private_segment_fixed_size 0
		.amdhsa_kernarg_size 272
		.amdhsa_user_sgpr_count 15
		.amdhsa_user_sgpr_dispatch_ptr 0
		.amdhsa_user_sgpr_queue_ptr 0
		.amdhsa_user_sgpr_kernarg_segment_ptr 1
		.amdhsa_user_sgpr_dispatch_id 0
		.amdhsa_user_sgpr_private_segment_size 0
		.amdhsa_wavefront_size32 1
		.amdhsa_uses_dynamic_stack 0
		.amdhsa_enable_private_segment 0
		.amdhsa_system_sgpr_workgroup_id_x 1
		.amdhsa_system_sgpr_workgroup_id_y 0
		.amdhsa_system_sgpr_workgroup_id_z 0
		.amdhsa_system_sgpr_workgroup_info 0
		.amdhsa_system_vgpr_workitem_id 0
		.amdhsa_next_free_vgpr 7
		.amdhsa_next_free_sgpr 16
		.amdhsa_reserve_vcc 0
		.amdhsa_float_round_mode_32 0
		.amdhsa_float_round_mode_16_64 0
		.amdhsa_float_denorm_mode_32 3
		.amdhsa_float_denorm_mode_16_64 3
		.amdhsa_dx10_clamp 1
		.amdhsa_ieee_mode 1
		.amdhsa_fp16_overflow 0
		.amdhsa_workgroup_processor_mode 1
		.amdhsa_memory_ordered 1
		.amdhsa_forward_progress 0
		.amdhsa_shared_vgpr_count 0
		.amdhsa_exception_fp_ieee_invalid_op 0
		.amdhsa_exception_fp_denorm_src 0
		.amdhsa_exception_fp_ieee_div_zero 0
		.amdhsa_exception_fp_ieee_overflow 0
		.amdhsa_exception_fp_ieee_underflow 0
		.amdhsa_exception_fp_ieee_inexact 0
		.amdhsa_exception_int_div_zero 0
	.end_amdhsa_kernel
	.section	.text._Z6kernelI6reduceILN6hipcub20BlockReduceAlgorithmE2EEhLj64ELj4ELj100EEvPKT0_PS4_,"axG",@progbits,_Z6kernelI6reduceILN6hipcub20BlockReduceAlgorithmE2EEhLj64ELj4ELj100EEvPKT0_PS4_,comdat
.Lfunc_end171:
	.size	_Z6kernelI6reduceILN6hipcub20BlockReduceAlgorithmE2EEhLj64ELj4ELj100EEvPKT0_PS4_, .Lfunc_end171-_Z6kernelI6reduceILN6hipcub20BlockReduceAlgorithmE2EEhLj64ELj4ELj100EEvPKT0_PS4_
                                        ; -- End function
	.section	.AMDGPU.csdata,"",@progbits
; Kernel info:
; codeLenInByte = 384
; NumSgprs: 16
; NumVgprs: 7
; ScratchSize: 0
; MemoryBound: 0
; FloatMode: 240
; IeeeMode: 1
; LDSByteSize: 64 bytes/workgroup (compile time only)
; SGPRBlocks: 1
; VGPRBlocks: 0
; NumSGPRsForWavesPerEU: 16
; NumVGPRsForWavesPerEU: 7
; Occupancy: 16
; WaveLimiterHint : 0
; COMPUTE_PGM_RSRC2:SCRATCH_EN: 0
; COMPUTE_PGM_RSRC2:USER_SGPR: 15
; COMPUTE_PGM_RSRC2:TRAP_HANDLER: 0
; COMPUTE_PGM_RSRC2:TGID_X_EN: 1
; COMPUTE_PGM_RSRC2:TGID_Y_EN: 0
; COMPUTE_PGM_RSRC2:TGID_Z_EN: 0
; COMPUTE_PGM_RSRC2:TIDIG_COMP_CNT: 0
	.section	.text._Z6kernelI6reduceILN6hipcub20BlockReduceAlgorithmE2EEhLj64ELj8ELj100EEvPKT0_PS4_,"axG",@progbits,_Z6kernelI6reduceILN6hipcub20BlockReduceAlgorithmE2EEhLj64ELj8ELj100EEvPKT0_PS4_,comdat
	.protected	_Z6kernelI6reduceILN6hipcub20BlockReduceAlgorithmE2EEhLj64ELj8ELj100EEvPKT0_PS4_ ; -- Begin function _Z6kernelI6reduceILN6hipcub20BlockReduceAlgorithmE2EEhLj64ELj8ELj100EEvPKT0_PS4_
	.globl	_Z6kernelI6reduceILN6hipcub20BlockReduceAlgorithmE2EEhLj64ELj8ELj100EEvPKT0_PS4_
	.p2align	8
	.type	_Z6kernelI6reduceILN6hipcub20BlockReduceAlgorithmE2EEhLj64ELj8ELj100EEvPKT0_PS4_,@function
_Z6kernelI6reduceILN6hipcub20BlockReduceAlgorithmE2EEhLj64ELj8ELj100EEvPKT0_PS4_: ; @_Z6kernelI6reduceILN6hipcub20BlockReduceAlgorithmE2EEhLj64ELj8ELj100EEvPKT0_PS4_
; %bb.0:
	s_clause 0x1
	s_load_b32 s4, s[0:1], 0x1c
	s_load_b128 s[0:3], s[0:1], 0x0
	v_mov_b32_e32 v3, 0x7c
	s_waitcnt lgkmcnt(0)
	s_and_b32 s4, s4, 0xffff
	s_delay_alu instid0(SALU_CYCLE_1) | instskip(NEXT) | instid1(SALU_CYCLE_1)
	s_mul_i32 s4, s15, s4
	v_add_lshl_u32 v1, s4, v0, 3
	global_load_b64 v[1:2], v1, s[0:1]
	s_movk_i32 s0, 0x64
.LBB172_1:                              ; =>This Inner Loop Header: Depth=1
	s_waitcnt vmcnt(0)
	s_delay_alu instid0(VALU_DEP_1) | instskip(SKIP_3) | instid1(VALU_DEP_3)
	v_lshrrev_b32_e32 v4, 8, v1
	v_lshrrev_b32_e32 v5, 16, v1
	;; [unrolled: 1-line block ×3, first 2 shown]
	s_barrier
	v_add_nc_u16 v4, v4, v1
	buffer_gl0_inv
	v_lshrrev_b32_e32 v7, 16, v2
	s_add_i32 s0, s0, -1
	s_delay_alu instid0(SALU_CYCLE_1) | instskip(SKIP_2) | instid1(VALU_DEP_2)
	s_cmp_eq_u32 s0, 0
	v_add_nc_u16 v4, v4, v5
	v_lshrrev_b32_e32 v5, 8, v2
	v_add_nc_u16 v4, v4, v6
	ds_load_u8 v6, v0 offset:32
	v_add_nc_u16 v4, v4, v2
	s_delay_alu instid0(VALU_DEP_1) | instskip(SKIP_2) | instid1(VALU_DEP_3)
	v_add_nc_u16 v4, v4, v5
	v_lshrrev_b32_e32 v5, 24, v2
	v_perm_b32 v2, v2, v2, 0x3060504
	v_add_nc_u16 v4, v4, v7
	s_delay_alu instid0(VALU_DEP_1) | instskip(SKIP_1) | instid1(VALU_DEP_1)
	v_add_nc_u16 v4, v4, v5
	s_waitcnt lgkmcnt(0)
	v_add_nc_u16 v4, v4, v6
	s_delay_alu instid0(VALU_DEP_1) | instskip(NEXT) | instid1(VALU_DEP_1)
	v_and_b32_e32 v5, 0xff, v4
	v_mov_b32_dpp v5, v5 quad_perm:[1,0,3,2] row_mask:0xf bank_mask:0xf
	s_delay_alu instid0(VALU_DEP_1) | instskip(NEXT) | instid1(VALU_DEP_1)
	v_add_nc_u16 v4, v4, v5
	v_and_b32_e32 v5, 0xff, v4
	s_delay_alu instid0(VALU_DEP_1) | instskip(NEXT) | instid1(VALU_DEP_1)
	v_mov_b32_dpp v5, v5 quad_perm:[2,3,0,1] row_mask:0xf bank_mask:0xf
	v_add_nc_u16 v4, v4, v5
	s_delay_alu instid0(VALU_DEP_1) | instskip(NEXT) | instid1(VALU_DEP_1)
	v_and_b32_e32 v5, 0xff, v4
	v_mov_b32_dpp v5, v5 row_ror:4 row_mask:0xf bank_mask:0xf
	s_delay_alu instid0(VALU_DEP_1) | instskip(NEXT) | instid1(VALU_DEP_1)
	v_add_nc_u16 v4, v4, v5
	v_and_b32_e32 v5, 0xff, v4
	s_delay_alu instid0(VALU_DEP_1) | instskip(NEXT) | instid1(VALU_DEP_1)
	v_mov_b32_dpp v5, v5 row_ror:8 row_mask:0xf bank_mask:0xf
	v_add_nc_u16 v4, v4, v5
	s_delay_alu instid0(VALU_DEP_1) | instskip(SKIP_3) | instid1(VALU_DEP_1)
	v_and_b32_e32 v5, 0xff, v4
	ds_swizzle_b32 v5, v5 offset:swizzle(BROADCAST,32,15)
	s_waitcnt lgkmcnt(0)
	v_add_nc_u16 v4, v4, v5
	v_and_b32_e32 v4, 0xff, v4
	ds_bpermute_b32 v4, v3, v4
	s_waitcnt lgkmcnt(0)
	v_perm_b32 v1, v4, v1, 0x3020104
	s_cbranch_scc0 .LBB172_1
; %bb.2:
	s_mov_b32 s0, exec_lo
	v_cmpx_eq_u32_e32 0, v0
	s_cbranch_execz .LBB172_4
; %bb.3:
	v_mov_b32_e32 v0, s15
	global_store_b8 v0, v4, s[2:3]
.LBB172_4:
	s_nop 0
	s_sendmsg sendmsg(MSG_DEALLOC_VGPRS)
	s_endpgm
	.section	.rodata,"a",@progbits
	.p2align	6, 0x0
	.amdhsa_kernel _Z6kernelI6reduceILN6hipcub20BlockReduceAlgorithmE2EEhLj64ELj8ELj100EEvPKT0_PS4_
		.amdhsa_group_segment_fixed_size 64
		.amdhsa_private_segment_fixed_size 0
		.amdhsa_kernarg_size 272
		.amdhsa_user_sgpr_count 15
		.amdhsa_user_sgpr_dispatch_ptr 0
		.amdhsa_user_sgpr_queue_ptr 0
		.amdhsa_user_sgpr_kernarg_segment_ptr 1
		.amdhsa_user_sgpr_dispatch_id 0
		.amdhsa_user_sgpr_private_segment_size 0
		.amdhsa_wavefront_size32 1
		.amdhsa_uses_dynamic_stack 0
		.amdhsa_enable_private_segment 0
		.amdhsa_system_sgpr_workgroup_id_x 1
		.amdhsa_system_sgpr_workgroup_id_y 0
		.amdhsa_system_sgpr_workgroup_id_z 0
		.amdhsa_system_sgpr_workgroup_info 0
		.amdhsa_system_vgpr_workitem_id 0
		.amdhsa_next_free_vgpr 8
		.amdhsa_next_free_sgpr 16
		.amdhsa_reserve_vcc 0
		.amdhsa_float_round_mode_32 0
		.amdhsa_float_round_mode_16_64 0
		.amdhsa_float_denorm_mode_32 3
		.amdhsa_float_denorm_mode_16_64 3
		.amdhsa_dx10_clamp 1
		.amdhsa_ieee_mode 1
		.amdhsa_fp16_overflow 0
		.amdhsa_workgroup_processor_mode 1
		.amdhsa_memory_ordered 1
		.amdhsa_forward_progress 0
		.amdhsa_shared_vgpr_count 0
		.amdhsa_exception_fp_ieee_invalid_op 0
		.amdhsa_exception_fp_denorm_src 0
		.amdhsa_exception_fp_ieee_div_zero 0
		.amdhsa_exception_fp_ieee_overflow 0
		.amdhsa_exception_fp_ieee_underflow 0
		.amdhsa_exception_fp_ieee_inexact 0
		.amdhsa_exception_int_div_zero 0
	.end_amdhsa_kernel
	.section	.text._Z6kernelI6reduceILN6hipcub20BlockReduceAlgorithmE2EEhLj64ELj8ELj100EEvPKT0_PS4_,"axG",@progbits,_Z6kernelI6reduceILN6hipcub20BlockReduceAlgorithmE2EEhLj64ELj8ELj100EEvPKT0_PS4_,comdat
.Lfunc_end172:
	.size	_Z6kernelI6reduceILN6hipcub20BlockReduceAlgorithmE2EEhLj64ELj8ELj100EEvPKT0_PS4_, .Lfunc_end172-_Z6kernelI6reduceILN6hipcub20BlockReduceAlgorithmE2EEhLj64ELj8ELj100EEvPKT0_PS4_
                                        ; -- End function
	.section	.AMDGPU.csdata,"",@progbits
; Kernel info:
; codeLenInByte = 444
; NumSgprs: 16
; NumVgprs: 8
; ScratchSize: 0
; MemoryBound: 0
; FloatMode: 240
; IeeeMode: 1
; LDSByteSize: 64 bytes/workgroup (compile time only)
; SGPRBlocks: 1
; VGPRBlocks: 0
; NumSGPRsForWavesPerEU: 16
; NumVGPRsForWavesPerEU: 8
; Occupancy: 16
; WaveLimiterHint : 0
; COMPUTE_PGM_RSRC2:SCRATCH_EN: 0
; COMPUTE_PGM_RSRC2:USER_SGPR: 15
; COMPUTE_PGM_RSRC2:TRAP_HANDLER: 0
; COMPUTE_PGM_RSRC2:TGID_X_EN: 1
; COMPUTE_PGM_RSRC2:TGID_Y_EN: 0
; COMPUTE_PGM_RSRC2:TGID_Z_EN: 0
; COMPUTE_PGM_RSRC2:TIDIG_COMP_CNT: 0
	.section	.text._Z6kernelI6reduceILN6hipcub20BlockReduceAlgorithmE2EEhLj64ELj11ELj100EEvPKT0_PS4_,"axG",@progbits,_Z6kernelI6reduceILN6hipcub20BlockReduceAlgorithmE2EEhLj64ELj11ELj100EEvPKT0_PS4_,comdat
	.protected	_Z6kernelI6reduceILN6hipcub20BlockReduceAlgorithmE2EEhLj64ELj11ELj100EEvPKT0_PS4_ ; -- Begin function _Z6kernelI6reduceILN6hipcub20BlockReduceAlgorithmE2EEhLj64ELj11ELj100EEvPKT0_PS4_
	.globl	_Z6kernelI6reduceILN6hipcub20BlockReduceAlgorithmE2EEhLj64ELj11ELj100EEvPKT0_PS4_
	.p2align	8
	.type	_Z6kernelI6reduceILN6hipcub20BlockReduceAlgorithmE2EEhLj64ELj11ELj100EEvPKT0_PS4_,@function
_Z6kernelI6reduceILN6hipcub20BlockReduceAlgorithmE2EEhLj64ELj11ELj100EEvPKT0_PS4_: ; @_Z6kernelI6reduceILN6hipcub20BlockReduceAlgorithmE2EEhLj64ELj11ELj100EEvPKT0_PS4_
; %bb.0:
	s_load_b32 s2, s[0:1], 0x1c
	s_waitcnt lgkmcnt(0)
	s_and_b32 s2, s2, 0xffff
	s_delay_alu instid0(SALU_CYCLE_1) | instskip(SKIP_1) | instid1(VALU_DEP_1)
	v_mad_u64_u32 v[1:2], null, s15, s2, v[0:1]
	s_load_b128 s[0:3], s[0:1], 0x0
	v_mul_lo_u32 v1, v1, 11
	s_delay_alu instid0(VALU_DEP_1)
	v_add_nc_u32_e32 v3, 5, v1
	v_add_nc_u32_e32 v4, 7, v1
	;; [unrolled: 1-line block ×5, first 2 shown]
	s_waitcnt lgkmcnt(0)
	s_clause 0x1
	global_load_u8 v8, v3, s[0:1]
	global_load_u8 v4, v4, s[0:1]
	v_add_nc_u32_e32 v7, 6, v1
	v_add_nc_u32_e32 v3, 2, v1
	s_clause 0x5
	global_load_u8 v9, v2, s[0:1]
	global_load_u8 v5, v5, s[0:1]
	;; [unrolled: 1-line block ×6, first 2 shown]
	v_add_nc_u32_e32 v2, 8, v1
	v_add_nc_u32_e32 v3, 9, v1
	;; [unrolled: 1-line block ×3, first 2 shown]
	s_clause 0x2
	global_load_u8 v1, v2, s[0:1]
	global_load_u8 v2, v3, s[0:1]
	;; [unrolled: 1-line block ×3, first 2 shown]
	s_movk_i32 s0, 0x64
	s_waitcnt vmcnt(8)
	v_lshlrev_b16 v9, 8, v9
	v_lshlrev_b16 v8, 8, v8
	;; [unrolled: 1-line block ×3, first 2 shown]
	s_waitcnt vmcnt(7)
	v_lshlrev_b16 v5, 8, v5
	s_waitcnt vmcnt(6)
	v_or_b32_e32 v6, v6, v8
	s_waitcnt vmcnt(5)
	v_or_b32_e32 v4, v7, v4
	;; [unrolled: 2-line block ×4, first 2 shown]
	v_and_b32_e32 v6, 0xffff, v6
	v_lshlrev_b32_e32 v4, 16, v4
	v_and_b32_e32 v7, 0xffff, v7
	s_delay_alu instid0(VALU_DEP_4) | instskip(NEXT) | instid1(VALU_DEP_3)
	v_dual_mov_b32 v5, 0x7c :: v_dual_lshlrev_b32 v8, 16, v5
	v_or_b32_e32 v4, v6, v4
	s_delay_alu instid0(VALU_DEP_2) | instskip(NEXT) | instid1(VALU_DEP_2)
	v_or_b32_e32 v6, v7, v8
	v_lshrrev_b32_e32 v7, 16, v4
	v_lshrrev_b32_e32 v8, 8, v4
	;; [unrolled: 1-line block ×3, first 2 shown]
.LBB173_1:                              ; =>This Inner Loop Header: Depth=1
	s_delay_alu instid0(VALU_DEP_1)
	v_lshrrev_b32_e32 v10, 8, v6
	v_lshrrev_b32_e32 v11, 16, v6
	;; [unrolled: 1-line block ×3, first 2 shown]
	s_waitcnt vmcnt(0)
	s_barrier
	v_add_nc_u16 v10, v10, v6
	buffer_gl0_inv
	s_add_i32 s0, s0, -1
	s_delay_alu instid0(SALU_CYCLE_1) | instskip(SKIP_3) | instid1(VALU_DEP_1)
	s_cmp_eq_u32 s0, 0
	v_add_nc_u16 v10, v10, v11
	ds_load_u8 v11, v0 offset:32
	v_add_nc_u16 v10, v10, v12
	v_add_nc_u16 v10, v10, v4
	s_delay_alu instid0(VALU_DEP_1) | instskip(NEXT) | instid1(VALU_DEP_1)
	v_add_nc_u16 v10, v10, v8
	v_add_nc_u16 v10, v10, v7
	s_delay_alu instid0(VALU_DEP_1) | instskip(NEXT) | instid1(VALU_DEP_1)
	;; [unrolled: 3-line block ×3, first 2 shown]
	v_add_nc_u16 v10, v10, v2
	v_add_nc_u16 v10, v10, v3
	s_waitcnt lgkmcnt(0)
	s_delay_alu instid0(VALU_DEP_1) | instskip(NEXT) | instid1(VALU_DEP_1)
	v_add_nc_u16 v10, v10, v11
	v_and_b32_e32 v11, 0xff, v10
	s_delay_alu instid0(VALU_DEP_1) | instskip(NEXT) | instid1(VALU_DEP_1)
	v_mov_b32_dpp v11, v11 quad_perm:[1,0,3,2] row_mask:0xf bank_mask:0xf
	v_add_nc_u16 v10, v10, v11
	s_delay_alu instid0(VALU_DEP_1) | instskip(NEXT) | instid1(VALU_DEP_1)
	v_and_b32_e32 v11, 0xff, v10
	v_mov_b32_dpp v11, v11 quad_perm:[2,3,0,1] row_mask:0xf bank_mask:0xf
	s_delay_alu instid0(VALU_DEP_1) | instskip(NEXT) | instid1(VALU_DEP_1)
	v_add_nc_u16 v10, v10, v11
	v_and_b32_e32 v11, 0xff, v10
	s_delay_alu instid0(VALU_DEP_1) | instskip(NEXT) | instid1(VALU_DEP_1)
	v_mov_b32_dpp v11, v11 row_ror:4 row_mask:0xf bank_mask:0xf
	v_add_nc_u16 v10, v10, v11
	s_delay_alu instid0(VALU_DEP_1) | instskip(NEXT) | instid1(VALU_DEP_1)
	v_and_b32_e32 v11, 0xff, v10
	v_mov_b32_dpp v11, v11 row_ror:8 row_mask:0xf bank_mask:0xf
	s_delay_alu instid0(VALU_DEP_1) | instskip(NEXT) | instid1(VALU_DEP_1)
	v_add_nc_u16 v10, v10, v11
	v_and_b32_e32 v11, 0xff, v10
	ds_swizzle_b32 v11, v11 offset:swizzle(BROADCAST,32,15)
	s_waitcnt lgkmcnt(0)
	v_add_nc_u16 v10, v10, v11
	s_delay_alu instid0(VALU_DEP_1)
	v_and_b32_e32 v10, 0xff, v10
	ds_bpermute_b32 v10, v5, v10
	s_waitcnt lgkmcnt(0)
	v_perm_b32 v6, v10, v6, 0x3020104
	s_cbranch_scc0 .LBB173_1
; %bb.2:
	s_mov_b32 s0, exec_lo
	v_cmpx_eq_u32_e32 0, v0
	s_cbranch_execz .LBB173_4
; %bb.3:
	v_mov_b32_e32 v0, s15
	global_store_b8 v0, v10, s[2:3]
.LBB173_4:
	s_nop 0
	s_sendmsg sendmsg(MSG_DEALLOC_VGPRS)
	s_endpgm
	.section	.rodata,"a",@progbits
	.p2align	6, 0x0
	.amdhsa_kernel _Z6kernelI6reduceILN6hipcub20BlockReduceAlgorithmE2EEhLj64ELj11ELj100EEvPKT0_PS4_
		.amdhsa_group_segment_fixed_size 64
		.amdhsa_private_segment_fixed_size 0
		.amdhsa_kernarg_size 272
		.amdhsa_user_sgpr_count 15
		.amdhsa_user_sgpr_dispatch_ptr 0
		.amdhsa_user_sgpr_queue_ptr 0
		.amdhsa_user_sgpr_kernarg_segment_ptr 1
		.amdhsa_user_sgpr_dispatch_id 0
		.amdhsa_user_sgpr_private_segment_size 0
		.amdhsa_wavefront_size32 1
		.amdhsa_uses_dynamic_stack 0
		.amdhsa_enable_private_segment 0
		.amdhsa_system_sgpr_workgroup_id_x 1
		.amdhsa_system_sgpr_workgroup_id_y 0
		.amdhsa_system_sgpr_workgroup_id_z 0
		.amdhsa_system_sgpr_workgroup_info 0
		.amdhsa_system_vgpr_workitem_id 0
		.amdhsa_next_free_vgpr 13
		.amdhsa_next_free_sgpr 16
		.amdhsa_reserve_vcc 0
		.amdhsa_float_round_mode_32 0
		.amdhsa_float_round_mode_16_64 0
		.amdhsa_float_denorm_mode_32 3
		.amdhsa_float_denorm_mode_16_64 3
		.amdhsa_dx10_clamp 1
		.amdhsa_ieee_mode 1
		.amdhsa_fp16_overflow 0
		.amdhsa_workgroup_processor_mode 1
		.amdhsa_memory_ordered 1
		.amdhsa_forward_progress 0
		.amdhsa_shared_vgpr_count 0
		.amdhsa_exception_fp_ieee_invalid_op 0
		.amdhsa_exception_fp_denorm_src 0
		.amdhsa_exception_fp_ieee_div_zero 0
		.amdhsa_exception_fp_ieee_overflow 0
		.amdhsa_exception_fp_ieee_underflow 0
		.amdhsa_exception_fp_ieee_inexact 0
		.amdhsa_exception_int_div_zero 0
	.end_amdhsa_kernel
	.section	.text._Z6kernelI6reduceILN6hipcub20BlockReduceAlgorithmE2EEhLj64ELj11ELj100EEvPKT0_PS4_,"axG",@progbits,_Z6kernelI6reduceILN6hipcub20BlockReduceAlgorithmE2EEhLj64ELj11ELj100EEvPKT0_PS4_,comdat
.Lfunc_end173:
	.size	_Z6kernelI6reduceILN6hipcub20BlockReduceAlgorithmE2EEhLj64ELj11ELj100EEvPKT0_PS4_, .Lfunc_end173-_Z6kernelI6reduceILN6hipcub20BlockReduceAlgorithmE2EEhLj64ELj11ELj100EEvPKT0_PS4_
                                        ; -- End function
	.section	.AMDGPU.csdata,"",@progbits
; Kernel info:
; codeLenInByte = 716
; NumSgprs: 16
; NumVgprs: 13
; ScratchSize: 0
; MemoryBound: 0
; FloatMode: 240
; IeeeMode: 1
; LDSByteSize: 64 bytes/workgroup (compile time only)
; SGPRBlocks: 1
; VGPRBlocks: 1
; NumSGPRsForWavesPerEU: 16
; NumVGPRsForWavesPerEU: 13
; Occupancy: 16
; WaveLimiterHint : 0
; COMPUTE_PGM_RSRC2:SCRATCH_EN: 0
; COMPUTE_PGM_RSRC2:USER_SGPR: 15
; COMPUTE_PGM_RSRC2:TRAP_HANDLER: 0
; COMPUTE_PGM_RSRC2:TGID_X_EN: 1
; COMPUTE_PGM_RSRC2:TGID_Y_EN: 0
; COMPUTE_PGM_RSRC2:TGID_Z_EN: 0
; COMPUTE_PGM_RSRC2:TIDIG_COMP_CNT: 0
	.section	.text._Z6kernelI6reduceILN6hipcub20BlockReduceAlgorithmE2EEhLj64ELj16ELj100EEvPKT0_PS4_,"axG",@progbits,_Z6kernelI6reduceILN6hipcub20BlockReduceAlgorithmE2EEhLj64ELj16ELj100EEvPKT0_PS4_,comdat
	.protected	_Z6kernelI6reduceILN6hipcub20BlockReduceAlgorithmE2EEhLj64ELj16ELj100EEvPKT0_PS4_ ; -- Begin function _Z6kernelI6reduceILN6hipcub20BlockReduceAlgorithmE2EEhLj64ELj16ELj100EEvPKT0_PS4_
	.globl	_Z6kernelI6reduceILN6hipcub20BlockReduceAlgorithmE2EEhLj64ELj16ELj100EEvPKT0_PS4_
	.p2align	8
	.type	_Z6kernelI6reduceILN6hipcub20BlockReduceAlgorithmE2EEhLj64ELj16ELj100EEvPKT0_PS4_,@function
_Z6kernelI6reduceILN6hipcub20BlockReduceAlgorithmE2EEhLj64ELj16ELj100EEvPKT0_PS4_: ; @_Z6kernelI6reduceILN6hipcub20BlockReduceAlgorithmE2EEhLj64ELj16ELj100EEvPKT0_PS4_
; %bb.0:
	s_clause 0x1
	s_load_b32 s4, s[0:1], 0x1c
	s_load_b128 s[0:3], s[0:1], 0x0
	v_mov_b32_e32 v5, 0x7c
	s_waitcnt lgkmcnt(0)
	s_and_b32 s4, s4, 0xffff
	s_delay_alu instid0(SALU_CYCLE_1) | instskip(NEXT) | instid1(SALU_CYCLE_1)
	s_mul_i32 s4, s15, s4
	v_add_lshl_u32 v1, s4, v0, 4
	global_load_b128 v[1:4], v1, s[0:1]
	s_movk_i32 s0, 0x64
	s_waitcnt vmcnt(0)
	v_lshrrev_b32_e32 v6, 8, v3
	v_lshrrev_b32_e32 v7, 16, v3
	;; [unrolled: 1-line block ×3, first 2 shown]
.LBB174_1:                              ; =>This Inner Loop Header: Depth=1
	s_delay_alu instid0(VALU_DEP_1) | instskip(SKIP_3) | instid1(VALU_DEP_3)
	v_lshrrev_b32_e32 v9, 8, v1
	v_lshrrev_b32_e32 v10, 16, v1
	;; [unrolled: 1-line block ×3, first 2 shown]
	s_barrier
	v_add_nc_u16 v9, v9, v1
	buffer_gl0_inv
	v_lshrrev_b32_e32 v12, 16, v4
	s_add_i32 s0, s0, -1
	s_delay_alu instid0(SALU_CYCLE_1) | instskip(SKIP_2) | instid1(VALU_DEP_2)
	s_cmp_eq_u32 s0, 0
	v_add_nc_u16 v9, v9, v10
	v_lshrrev_b32_e32 v10, 8, v2
	v_add_nc_u16 v9, v9, v11
	v_lshrrev_b32_e32 v11, 16, v2
	s_delay_alu instid0(VALU_DEP_2) | instskip(NEXT) | instid1(VALU_DEP_1)
	v_add_nc_u16 v9, v9, v2
	v_add_nc_u16 v9, v9, v10
	v_lshrrev_b32_e32 v10, 24, v2
	v_perm_b32 v2, v2, v2, 0x3060504
	s_delay_alu instid0(VALU_DEP_3) | instskip(SKIP_3) | instid1(VALU_DEP_2)
	v_add_nc_u16 v9, v9, v11
	ds_load_u8 v11, v0 offset:32
	v_add_nc_u16 v9, v9, v10
	v_lshrrev_b32_e32 v10, 8, v4
	v_add_nc_u16 v9, v9, v3
	s_delay_alu instid0(VALU_DEP_1) | instskip(NEXT) | instid1(VALU_DEP_1)
	v_add_nc_u16 v9, v9, v6
	v_add_nc_u16 v9, v9, v7
	s_delay_alu instid0(VALU_DEP_1) | instskip(NEXT) | instid1(VALU_DEP_1)
	v_add_nc_u16 v9, v9, v8
	v_add_nc_u16 v9, v9, v4
	s_delay_alu instid0(VALU_DEP_1) | instskip(SKIP_2) | instid1(VALU_DEP_3)
	v_add_nc_u16 v9, v9, v10
	v_lshrrev_b32_e32 v10, 24, v4
	v_perm_b32 v4, v4, v4, 0x3060504
	v_add_nc_u16 v9, v9, v12
	s_delay_alu instid0(VALU_DEP_1) | instskip(SKIP_1) | instid1(VALU_DEP_1)
	v_add_nc_u16 v9, v9, v10
	s_waitcnt lgkmcnt(0)
	v_add_nc_u16 v9, v9, v11
	s_delay_alu instid0(VALU_DEP_1) | instskip(NEXT) | instid1(VALU_DEP_1)
	v_and_b32_e32 v10, 0xff, v9
	v_mov_b32_dpp v10, v10 quad_perm:[1,0,3,2] row_mask:0xf bank_mask:0xf
	s_delay_alu instid0(VALU_DEP_1) | instskip(NEXT) | instid1(VALU_DEP_1)
	v_add_nc_u16 v9, v9, v10
	v_and_b32_e32 v10, 0xff, v9
	s_delay_alu instid0(VALU_DEP_1) | instskip(NEXT) | instid1(VALU_DEP_1)
	v_mov_b32_dpp v10, v10 quad_perm:[2,3,0,1] row_mask:0xf bank_mask:0xf
	v_add_nc_u16 v9, v9, v10
	s_delay_alu instid0(VALU_DEP_1) | instskip(NEXT) | instid1(VALU_DEP_1)
	v_and_b32_e32 v10, 0xff, v9
	v_mov_b32_dpp v10, v10 row_ror:4 row_mask:0xf bank_mask:0xf
	s_delay_alu instid0(VALU_DEP_1) | instskip(NEXT) | instid1(VALU_DEP_1)
	v_add_nc_u16 v9, v9, v10
	v_and_b32_e32 v10, 0xff, v9
	s_delay_alu instid0(VALU_DEP_1) | instskip(NEXT) | instid1(VALU_DEP_1)
	v_mov_b32_dpp v10, v10 row_ror:8 row_mask:0xf bank_mask:0xf
	v_add_nc_u16 v9, v9, v10
	s_delay_alu instid0(VALU_DEP_1) | instskip(SKIP_3) | instid1(VALU_DEP_1)
	v_and_b32_e32 v10, 0xff, v9
	ds_swizzle_b32 v10, v10 offset:swizzle(BROADCAST,32,15)
	s_waitcnt lgkmcnt(0)
	v_add_nc_u16 v9, v9, v10
	v_and_b32_e32 v9, 0xff, v9
	ds_bpermute_b32 v9, v5, v9
	s_waitcnt lgkmcnt(0)
	v_perm_b32 v1, v9, v1, 0x3020104
	s_cbranch_scc0 .LBB174_1
; %bb.2:
	s_mov_b32 s0, exec_lo
	v_cmpx_eq_u32_e32 0, v0
	s_cbranch_execz .LBB174_4
; %bb.3:
	v_mov_b32_e32 v0, s15
	global_store_b8 v0, v9, s[2:3]
.LBB174_4:
	s_nop 0
	s_sendmsg sendmsg(MSG_DEALLOC_VGPRS)
	s_endpgm
	.section	.rodata,"a",@progbits
	.p2align	6, 0x0
	.amdhsa_kernel _Z6kernelI6reduceILN6hipcub20BlockReduceAlgorithmE2EEhLj64ELj16ELj100EEvPKT0_PS4_
		.amdhsa_group_segment_fixed_size 64
		.amdhsa_private_segment_fixed_size 0
		.amdhsa_kernarg_size 272
		.amdhsa_user_sgpr_count 15
		.amdhsa_user_sgpr_dispatch_ptr 0
		.amdhsa_user_sgpr_queue_ptr 0
		.amdhsa_user_sgpr_kernarg_segment_ptr 1
		.amdhsa_user_sgpr_dispatch_id 0
		.amdhsa_user_sgpr_private_segment_size 0
		.amdhsa_wavefront_size32 1
		.amdhsa_uses_dynamic_stack 0
		.amdhsa_enable_private_segment 0
		.amdhsa_system_sgpr_workgroup_id_x 1
		.amdhsa_system_sgpr_workgroup_id_y 0
		.amdhsa_system_sgpr_workgroup_id_z 0
		.amdhsa_system_sgpr_workgroup_info 0
		.amdhsa_system_vgpr_workitem_id 0
		.amdhsa_next_free_vgpr 13
		.amdhsa_next_free_sgpr 16
		.amdhsa_reserve_vcc 0
		.amdhsa_float_round_mode_32 0
		.amdhsa_float_round_mode_16_64 0
		.amdhsa_float_denorm_mode_32 3
		.amdhsa_float_denorm_mode_16_64 3
		.amdhsa_dx10_clamp 1
		.amdhsa_ieee_mode 1
		.amdhsa_fp16_overflow 0
		.amdhsa_workgroup_processor_mode 1
		.amdhsa_memory_ordered 1
		.amdhsa_forward_progress 0
		.amdhsa_shared_vgpr_count 0
		.amdhsa_exception_fp_ieee_invalid_op 0
		.amdhsa_exception_fp_denorm_src 0
		.amdhsa_exception_fp_ieee_div_zero 0
		.amdhsa_exception_fp_ieee_overflow 0
		.amdhsa_exception_fp_ieee_underflow 0
		.amdhsa_exception_fp_ieee_inexact 0
		.amdhsa_exception_int_div_zero 0
	.end_amdhsa_kernel
	.section	.text._Z6kernelI6reduceILN6hipcub20BlockReduceAlgorithmE2EEhLj64ELj16ELj100EEvPKT0_PS4_,"axG",@progbits,_Z6kernelI6reduceILN6hipcub20BlockReduceAlgorithmE2EEhLj64ELj16ELj100EEvPKT0_PS4_,comdat
.Lfunc_end174:
	.size	_Z6kernelI6reduceILN6hipcub20BlockReduceAlgorithmE2EEhLj64ELj16ELj100EEvPKT0_PS4_, .Lfunc_end174-_Z6kernelI6reduceILN6hipcub20BlockReduceAlgorithmE2EEhLj64ELj16ELj100EEvPKT0_PS4_
                                        ; -- End function
	.section	.AMDGPU.csdata,"",@progbits
; Kernel info:
; codeLenInByte = 560
; NumSgprs: 16
; NumVgprs: 13
; ScratchSize: 0
; MemoryBound: 0
; FloatMode: 240
; IeeeMode: 1
; LDSByteSize: 64 bytes/workgroup (compile time only)
; SGPRBlocks: 1
; VGPRBlocks: 1
; NumSGPRsForWavesPerEU: 16
; NumVGPRsForWavesPerEU: 13
; Occupancy: 16
; WaveLimiterHint : 0
; COMPUTE_PGM_RSRC2:SCRATCH_EN: 0
; COMPUTE_PGM_RSRC2:USER_SGPR: 15
; COMPUTE_PGM_RSRC2:TRAP_HANDLER: 0
; COMPUTE_PGM_RSRC2:TGID_X_EN: 1
; COMPUTE_PGM_RSRC2:TGID_Y_EN: 0
; COMPUTE_PGM_RSRC2:TGID_Z_EN: 0
; COMPUTE_PGM_RSRC2:TIDIG_COMP_CNT: 0
	.section	.text._Z6kernelI6reduceILN6hipcub20BlockReduceAlgorithmE2EEiLj256ELj1ELj100EEvPKT0_PS4_,"axG",@progbits,_Z6kernelI6reduceILN6hipcub20BlockReduceAlgorithmE2EEiLj256ELj1ELj100EEvPKT0_PS4_,comdat
	.protected	_Z6kernelI6reduceILN6hipcub20BlockReduceAlgorithmE2EEiLj256ELj1ELj100EEvPKT0_PS4_ ; -- Begin function _Z6kernelI6reduceILN6hipcub20BlockReduceAlgorithmE2EEiLj256ELj1ELj100EEvPKT0_PS4_
	.globl	_Z6kernelI6reduceILN6hipcub20BlockReduceAlgorithmE2EEiLj256ELj1ELj100EEvPKT0_PS4_
	.p2align	8
	.type	_Z6kernelI6reduceILN6hipcub20BlockReduceAlgorithmE2EEiLj256ELj1ELj100EEvPKT0_PS4_,@function
_Z6kernelI6reduceILN6hipcub20BlockReduceAlgorithmE2EEiLj256ELj1ELj100EEvPKT0_PS4_: ; @_Z6kernelI6reduceILN6hipcub20BlockReduceAlgorithmE2EEiLj256ELj1ELj100EEvPKT0_PS4_
; %bb.0:
	s_clause 0x1
	s_load_b32 s5, s[0:1], 0x1c
	s_load_b128 s[0:3], s[0:1], 0x0
	s_mov_b32 s4, s15
	v_mov_b32_e32 v3, 0x7c
	s_waitcnt lgkmcnt(0)
	s_and_b32 s5, s5, 0xffff
	s_delay_alu instid0(SALU_CYCLE_1) | instskip(SKIP_1) | instid1(VALU_DEP_1)
	v_mad_u64_u32 v[1:2], null, s4, s5, v[0:1]
	v_mov_b32_e32 v2, 0
	v_lshlrev_b64 v[1:2], 2, v[1:2]
	s_delay_alu instid0(VALU_DEP_1) | instskip(NEXT) | instid1(VALU_DEP_2)
	v_add_co_u32 v1, vcc_lo, s0, v1
	v_add_co_ci_u32_e32 v2, vcc_lo, s1, v2, vcc_lo
	s_movk_i32 s0, 0x64
	global_load_b32 v1, v[1:2], off
	v_lshlrev_b32_e32 v2, 2, v0
	s_set_inst_prefetch_distance 0x1
	.p2align	6
.LBB175_1:                              ; =>This Inner Loop Header: Depth=1
	s_waitcnt vmcnt(0) lgkmcnt(0)
	s_barrier
	buffer_gl0_inv
	ds_load_2addr_b32 v[4:5], v2 offset0:32 offset1:64
	ds_load_2addr_b32 v[6:7], v2 offset0:96 offset1:128
	;; [unrolled: 1-line block ×3, first 2 shown]
	ds_load_b32 v10, v2 offset:896
	s_add_i32 s0, s0, -1
	s_delay_alu instid0(SALU_CYCLE_1) | instskip(SKIP_3) | instid1(VALU_DEP_1)
	s_cmp_eq_u32 s0, 0
	s_waitcnt lgkmcnt(3)
	v_add_nc_u32_e32 v1, v4, v1
	s_waitcnt lgkmcnt(2)
	v_add3_u32 v1, v1, v5, v6
	s_waitcnt lgkmcnt(1)
	s_delay_alu instid0(VALU_DEP_1) | instskip(SKIP_1) | instid1(VALU_DEP_1)
	v_add3_u32 v1, v1, v7, v8
	s_waitcnt lgkmcnt(0)
	v_add3_u32 v1, v1, v9, v10
	s_delay_alu instid0(VALU_DEP_1) | instskip(NEXT) | instid1(VALU_DEP_1)
	v_mov_b32_dpp v4, v1 quad_perm:[1,0,3,2] row_mask:0xf bank_mask:0xf
	v_add_nc_u32_e32 v1, v4, v1
	s_delay_alu instid0(VALU_DEP_1) | instskip(NEXT) | instid1(VALU_DEP_1)
	v_mov_b32_dpp v4, v1 quad_perm:[2,3,0,1] row_mask:0xf bank_mask:0xf
	v_add_nc_u32_e32 v1, v1, v4
	s_delay_alu instid0(VALU_DEP_1) | instskip(NEXT) | instid1(VALU_DEP_1)
	v_mov_b32_dpp v4, v1 row_ror:4 row_mask:0xf bank_mask:0xf
	v_add_nc_u32_e32 v1, v1, v4
	s_delay_alu instid0(VALU_DEP_1) | instskip(NEXT) | instid1(VALU_DEP_1)
	v_mov_b32_dpp v4, v1 row_ror:8 row_mask:0xf bank_mask:0xf
	v_add_nc_u32_e32 v1, v1, v4
	ds_swizzle_b32 v4, v1 offset:swizzle(BROADCAST,32,15)
	s_waitcnt lgkmcnt(0)
	v_add_nc_u32_e32 v1, v1, v4
	ds_bpermute_b32 v1, v3, v1
	s_cbranch_scc0 .LBB175_1
; %bb.2:
	s_set_inst_prefetch_distance 0x2
	s_mov_b32 s5, 0
	s_mov_b32 s0, exec_lo
	v_cmpx_eq_u32_e32 0, v0
	s_cbranch_execz .LBB175_4
; %bb.3:
	s_lshl_b64 s[0:1], s[4:5], 2
	v_mov_b32_e32 v0, 0
	s_add_u32 s0, s2, s0
	s_addc_u32 s1, s3, s1
	s_waitcnt lgkmcnt(0)
	global_store_b32 v0, v1, s[0:1]
.LBB175_4:
	s_nop 0
	s_sendmsg sendmsg(MSG_DEALLOC_VGPRS)
	s_endpgm
	.section	.rodata,"a",@progbits
	.p2align	6, 0x0
	.amdhsa_kernel _Z6kernelI6reduceILN6hipcub20BlockReduceAlgorithmE2EEiLj256ELj1ELj100EEvPKT0_PS4_
		.amdhsa_group_segment_fixed_size 1024
		.amdhsa_private_segment_fixed_size 0
		.amdhsa_kernarg_size 272
		.amdhsa_user_sgpr_count 15
		.amdhsa_user_sgpr_dispatch_ptr 0
		.amdhsa_user_sgpr_queue_ptr 0
		.amdhsa_user_sgpr_kernarg_segment_ptr 1
		.amdhsa_user_sgpr_dispatch_id 0
		.amdhsa_user_sgpr_private_segment_size 0
		.amdhsa_wavefront_size32 1
		.amdhsa_uses_dynamic_stack 0
		.amdhsa_enable_private_segment 0
		.amdhsa_system_sgpr_workgroup_id_x 1
		.amdhsa_system_sgpr_workgroup_id_y 0
		.amdhsa_system_sgpr_workgroup_id_z 0
		.amdhsa_system_sgpr_workgroup_info 0
		.amdhsa_system_vgpr_workitem_id 0
		.amdhsa_next_free_vgpr 11
		.amdhsa_next_free_sgpr 16
		.amdhsa_reserve_vcc 1
		.amdhsa_float_round_mode_32 0
		.amdhsa_float_round_mode_16_64 0
		.amdhsa_float_denorm_mode_32 3
		.amdhsa_float_denorm_mode_16_64 3
		.amdhsa_dx10_clamp 1
		.amdhsa_ieee_mode 1
		.amdhsa_fp16_overflow 0
		.amdhsa_workgroup_processor_mode 1
		.amdhsa_memory_ordered 1
		.amdhsa_forward_progress 0
		.amdhsa_shared_vgpr_count 0
		.amdhsa_exception_fp_ieee_invalid_op 0
		.amdhsa_exception_fp_denorm_src 0
		.amdhsa_exception_fp_ieee_div_zero 0
		.amdhsa_exception_fp_ieee_overflow 0
		.amdhsa_exception_fp_ieee_underflow 0
		.amdhsa_exception_fp_ieee_inexact 0
		.amdhsa_exception_int_div_zero 0
	.end_amdhsa_kernel
	.section	.text._Z6kernelI6reduceILN6hipcub20BlockReduceAlgorithmE2EEiLj256ELj1ELj100EEvPKT0_PS4_,"axG",@progbits,_Z6kernelI6reduceILN6hipcub20BlockReduceAlgorithmE2EEiLj256ELj1ELj100EEvPKT0_PS4_,comdat
.Lfunc_end175:
	.size	_Z6kernelI6reduceILN6hipcub20BlockReduceAlgorithmE2EEiLj256ELj1ELj100EEvPKT0_PS4_, .Lfunc_end175-_Z6kernelI6reduceILN6hipcub20BlockReduceAlgorithmE2EEiLj256ELj1ELj100EEvPKT0_PS4_
                                        ; -- End function
	.section	.AMDGPU.csdata,"",@progbits
; Kernel info:
; codeLenInByte = 364
; NumSgprs: 18
; NumVgprs: 11
; ScratchSize: 0
; MemoryBound: 0
; FloatMode: 240
; IeeeMode: 1
; LDSByteSize: 1024 bytes/workgroup (compile time only)
; SGPRBlocks: 2
; VGPRBlocks: 1
; NumSGPRsForWavesPerEU: 18
; NumVGPRsForWavesPerEU: 11
; Occupancy: 16
; WaveLimiterHint : 0
; COMPUTE_PGM_RSRC2:SCRATCH_EN: 0
; COMPUTE_PGM_RSRC2:USER_SGPR: 15
; COMPUTE_PGM_RSRC2:TRAP_HANDLER: 0
; COMPUTE_PGM_RSRC2:TGID_X_EN: 1
; COMPUTE_PGM_RSRC2:TGID_Y_EN: 0
; COMPUTE_PGM_RSRC2:TGID_Z_EN: 0
; COMPUTE_PGM_RSRC2:TIDIG_COMP_CNT: 0
	.section	.text._Z6kernelI6reduceILN6hipcub20BlockReduceAlgorithmE2EEiLj256ELj2ELj100EEvPKT0_PS4_,"axG",@progbits,_Z6kernelI6reduceILN6hipcub20BlockReduceAlgorithmE2EEiLj256ELj2ELj100EEvPKT0_PS4_,comdat
	.protected	_Z6kernelI6reduceILN6hipcub20BlockReduceAlgorithmE2EEiLj256ELj2ELj100EEvPKT0_PS4_ ; -- Begin function _Z6kernelI6reduceILN6hipcub20BlockReduceAlgorithmE2EEiLj256ELj2ELj100EEvPKT0_PS4_
	.globl	_Z6kernelI6reduceILN6hipcub20BlockReduceAlgorithmE2EEiLj256ELj2ELj100EEvPKT0_PS4_
	.p2align	8
	.type	_Z6kernelI6reduceILN6hipcub20BlockReduceAlgorithmE2EEiLj256ELj2ELj100EEvPKT0_PS4_,@function
_Z6kernelI6reduceILN6hipcub20BlockReduceAlgorithmE2EEiLj256ELj2ELj100EEvPKT0_PS4_: ; @_Z6kernelI6reduceILN6hipcub20BlockReduceAlgorithmE2EEiLj256ELj2ELj100EEvPKT0_PS4_
; %bb.0:
	s_clause 0x1
	s_load_b32 s5, s[0:1], 0x1c
	s_load_b128 s[0:3], s[0:1], 0x0
	v_dual_mov_b32 v2, 0 :: v_dual_lshlrev_b32 v3, 2, v0
	v_mov_b32_e32 v4, 0x7c
	s_mov_b32 s4, s15
	s_waitcnt lgkmcnt(0)
	s_and_b32 s5, s5, 0xffff
	s_delay_alu instid0(SALU_CYCLE_1) | instskip(NEXT) | instid1(SALU_CYCLE_1)
	s_mul_i32 s5, s15, s5
	v_add_lshl_u32 v1, s5, v0, 1
	s_delay_alu instid0(VALU_DEP_1) | instskip(NEXT) | instid1(VALU_DEP_1)
	v_lshlrev_b64 v[1:2], 2, v[1:2]
	v_add_co_u32 v1, vcc_lo, s0, v1
	s_delay_alu instid0(VALU_DEP_2)
	v_add_co_ci_u32_e32 v2, vcc_lo, s1, v2, vcc_lo
	s_movk_i32 s0, 0x64
	global_load_b64 v[1:2], v[1:2], off
	s_set_inst_prefetch_distance 0x1
	.p2align	6
.LBB176_1:                              ; =>This Inner Loop Header: Depth=1
	s_waitcnt vmcnt(0) lgkmcnt(0)
	s_barrier
	buffer_gl0_inv
	ds_load_2addr_b32 v[5:6], v3 offset0:32 offset1:64
	ds_load_2addr_b32 v[7:8], v3 offset0:96 offset1:128
	;; [unrolled: 1-line block ×3, first 2 shown]
	ds_load_b32 v11, v3 offset:896
	s_add_i32 s0, s0, -1
	s_delay_alu instid0(SALU_CYCLE_1) | instskip(SKIP_3) | instid1(VALU_DEP_1)
	s_cmp_eq_u32 s0, 0
	s_waitcnt lgkmcnt(3)
	v_add3_u32 v1, v2, v1, v5
	s_waitcnt lgkmcnt(2)
	v_add3_u32 v1, v1, v6, v7
	s_waitcnt lgkmcnt(1)
	s_delay_alu instid0(VALU_DEP_1) | instskip(SKIP_1) | instid1(VALU_DEP_1)
	v_add3_u32 v1, v1, v8, v9
	s_waitcnt lgkmcnt(0)
	v_add3_u32 v1, v1, v10, v11
	s_delay_alu instid0(VALU_DEP_1) | instskip(NEXT) | instid1(VALU_DEP_1)
	v_mov_b32_dpp v5, v1 quad_perm:[1,0,3,2] row_mask:0xf bank_mask:0xf
	v_add_nc_u32_e32 v1, v5, v1
	s_delay_alu instid0(VALU_DEP_1) | instskip(NEXT) | instid1(VALU_DEP_1)
	v_mov_b32_dpp v5, v1 quad_perm:[2,3,0,1] row_mask:0xf bank_mask:0xf
	v_add_nc_u32_e32 v1, v1, v5
	s_delay_alu instid0(VALU_DEP_1) | instskip(NEXT) | instid1(VALU_DEP_1)
	v_mov_b32_dpp v5, v1 row_ror:4 row_mask:0xf bank_mask:0xf
	v_add_nc_u32_e32 v1, v1, v5
	s_delay_alu instid0(VALU_DEP_1) | instskip(NEXT) | instid1(VALU_DEP_1)
	v_mov_b32_dpp v5, v1 row_ror:8 row_mask:0xf bank_mask:0xf
	v_add_nc_u32_e32 v1, v1, v5
	ds_swizzle_b32 v5, v1 offset:swizzle(BROADCAST,32,15)
	s_waitcnt lgkmcnt(0)
	v_add_nc_u32_e32 v1, v1, v5
	ds_bpermute_b32 v1, v4, v1
	s_cbranch_scc0 .LBB176_1
; %bb.2:
	s_set_inst_prefetch_distance 0x2
	s_mov_b32 s5, 0
	s_mov_b32 s0, exec_lo
	v_cmpx_eq_u32_e32 0, v0
	s_cbranch_execz .LBB176_4
; %bb.3:
	s_lshl_b64 s[0:1], s[4:5], 2
	v_mov_b32_e32 v0, 0
	s_add_u32 s0, s2, s0
	s_addc_u32 s1, s3, s1
	s_waitcnt lgkmcnt(0)
	global_store_b32 v0, v1, s[0:1]
.LBB176_4:
	s_nop 0
	s_sendmsg sendmsg(MSG_DEALLOC_VGPRS)
	s_endpgm
	.section	.rodata,"a",@progbits
	.p2align	6, 0x0
	.amdhsa_kernel _Z6kernelI6reduceILN6hipcub20BlockReduceAlgorithmE2EEiLj256ELj2ELj100EEvPKT0_PS4_
		.amdhsa_group_segment_fixed_size 1024
		.amdhsa_private_segment_fixed_size 0
		.amdhsa_kernarg_size 272
		.amdhsa_user_sgpr_count 15
		.amdhsa_user_sgpr_dispatch_ptr 0
		.amdhsa_user_sgpr_queue_ptr 0
		.amdhsa_user_sgpr_kernarg_segment_ptr 1
		.amdhsa_user_sgpr_dispatch_id 0
		.amdhsa_user_sgpr_private_segment_size 0
		.amdhsa_wavefront_size32 1
		.amdhsa_uses_dynamic_stack 0
		.amdhsa_enable_private_segment 0
		.amdhsa_system_sgpr_workgroup_id_x 1
		.amdhsa_system_sgpr_workgroup_id_y 0
		.amdhsa_system_sgpr_workgroup_id_z 0
		.amdhsa_system_sgpr_workgroup_info 0
		.amdhsa_system_vgpr_workitem_id 0
		.amdhsa_next_free_vgpr 12
		.amdhsa_next_free_sgpr 16
		.amdhsa_reserve_vcc 1
		.amdhsa_float_round_mode_32 0
		.amdhsa_float_round_mode_16_64 0
		.amdhsa_float_denorm_mode_32 3
		.amdhsa_float_denorm_mode_16_64 3
		.amdhsa_dx10_clamp 1
		.amdhsa_ieee_mode 1
		.amdhsa_fp16_overflow 0
		.amdhsa_workgroup_processor_mode 1
		.amdhsa_memory_ordered 1
		.amdhsa_forward_progress 0
		.amdhsa_shared_vgpr_count 0
		.amdhsa_exception_fp_ieee_invalid_op 0
		.amdhsa_exception_fp_denorm_src 0
		.amdhsa_exception_fp_ieee_div_zero 0
		.amdhsa_exception_fp_ieee_overflow 0
		.amdhsa_exception_fp_ieee_underflow 0
		.amdhsa_exception_fp_ieee_inexact 0
		.amdhsa_exception_int_div_zero 0
	.end_amdhsa_kernel
	.section	.text._Z6kernelI6reduceILN6hipcub20BlockReduceAlgorithmE2EEiLj256ELj2ELj100EEvPKT0_PS4_,"axG",@progbits,_Z6kernelI6reduceILN6hipcub20BlockReduceAlgorithmE2EEiLj256ELj2ELj100EEvPKT0_PS4_,comdat
.Lfunc_end176:
	.size	_Z6kernelI6reduceILN6hipcub20BlockReduceAlgorithmE2EEiLj256ELj2ELj100EEvPKT0_PS4_, .Lfunc_end176-_Z6kernelI6reduceILN6hipcub20BlockReduceAlgorithmE2EEiLj256ELj2ELj100EEvPKT0_PS4_
                                        ; -- End function
	.section	.AMDGPU.csdata,"",@progbits
; Kernel info:
; codeLenInByte = 376
; NumSgprs: 18
; NumVgprs: 12
; ScratchSize: 0
; MemoryBound: 0
; FloatMode: 240
; IeeeMode: 1
; LDSByteSize: 1024 bytes/workgroup (compile time only)
; SGPRBlocks: 2
; VGPRBlocks: 1
; NumSGPRsForWavesPerEU: 18
; NumVGPRsForWavesPerEU: 12
; Occupancy: 16
; WaveLimiterHint : 0
; COMPUTE_PGM_RSRC2:SCRATCH_EN: 0
; COMPUTE_PGM_RSRC2:USER_SGPR: 15
; COMPUTE_PGM_RSRC2:TRAP_HANDLER: 0
; COMPUTE_PGM_RSRC2:TGID_X_EN: 1
; COMPUTE_PGM_RSRC2:TGID_Y_EN: 0
; COMPUTE_PGM_RSRC2:TGID_Z_EN: 0
; COMPUTE_PGM_RSRC2:TIDIG_COMP_CNT: 0
	.section	.text._Z6kernelI6reduceILN6hipcub20BlockReduceAlgorithmE2EEiLj256ELj3ELj100EEvPKT0_PS4_,"axG",@progbits,_Z6kernelI6reduceILN6hipcub20BlockReduceAlgorithmE2EEiLj256ELj3ELj100EEvPKT0_PS4_,comdat
	.protected	_Z6kernelI6reduceILN6hipcub20BlockReduceAlgorithmE2EEiLj256ELj3ELj100EEvPKT0_PS4_ ; -- Begin function _Z6kernelI6reduceILN6hipcub20BlockReduceAlgorithmE2EEiLj256ELj3ELj100EEvPKT0_PS4_
	.globl	_Z6kernelI6reduceILN6hipcub20BlockReduceAlgorithmE2EEiLj256ELj3ELj100EEvPKT0_PS4_
	.p2align	8
	.type	_Z6kernelI6reduceILN6hipcub20BlockReduceAlgorithmE2EEiLj256ELj3ELj100EEvPKT0_PS4_,@function
_Z6kernelI6reduceILN6hipcub20BlockReduceAlgorithmE2EEiLj256ELj3ELj100EEvPKT0_PS4_: ; @_Z6kernelI6reduceILN6hipcub20BlockReduceAlgorithmE2EEiLj256ELj3ELj100EEvPKT0_PS4_
; %bb.0:
	s_load_b32 s2, s[0:1], 0x1c
	s_mov_b32 s4, s15
	s_waitcnt lgkmcnt(0)
	s_and_b32 s2, s2, 0xffff
	s_delay_alu instid0(SALU_CYCLE_1) | instskip(SKIP_1) | instid1(VALU_DEP_1)
	v_mad_u64_u32 v[1:2], null, s4, s2, v[0:1]
	s_load_b128 s[0:3], s[0:1], 0x0
	v_lshl_add_u32 v1, v1, 1, v1
	s_delay_alu instid0(VALU_DEP_1) | instskip(NEXT) | instid1(VALU_DEP_1)
	v_dual_mov_b32 v2, 0 :: v_dual_add_nc_u32 v3, 1, v1
	v_mov_b32_e32 v4, v2
	v_lshlrev_b64 v[5:6], 2, v[1:2]
	v_add_nc_u32_e32 v1, 2, v1
	s_delay_alu instid0(VALU_DEP_3) | instskip(NEXT) | instid1(VALU_DEP_2)
	v_lshlrev_b64 v[3:4], 2, v[3:4]
	v_lshlrev_b64 v[1:2], 2, v[1:2]
	s_waitcnt lgkmcnt(0)
	s_delay_alu instid0(VALU_DEP_4) | instskip(SKIP_1) | instid1(VALU_DEP_4)
	v_add_co_u32 v5, vcc_lo, s0, v5
	v_add_co_ci_u32_e32 v6, vcc_lo, s1, v6, vcc_lo
	v_add_co_u32 v3, vcc_lo, s0, v3
	v_add_co_ci_u32_e32 v4, vcc_lo, s1, v4, vcc_lo
	;; [unrolled: 2-line block ×3, first 2 shown]
	s_clause 0x2
	global_load_b32 v1, v[5:6], off
	global_load_b32 v2, v[3:4], off
	;; [unrolled: 1-line block ×3, first 2 shown]
	v_dual_mov_b32 v5, 0x7c :: v_dual_lshlrev_b32 v4, 2, v0
	s_movk_i32 s0, 0x64
	s_set_inst_prefetch_distance 0x1
	.p2align	6
.LBB177_1:                              ; =>This Inner Loop Header: Depth=1
	s_waitcnt vmcnt(0) lgkmcnt(0)
	s_barrier
	buffer_gl0_inv
	ds_load_2addr_b32 v[6:7], v4 offset0:32 offset1:64
	ds_load_2addr_b32 v[8:9], v4 offset0:96 offset1:128
	;; [unrolled: 1-line block ×3, first 2 shown]
	v_add_nc_u32_e32 v1, v2, v1
	ds_load_b32 v12, v4 offset:896
	s_add_i32 s0, s0, -1
	s_delay_alu instid0(SALU_CYCLE_1) | instskip(SKIP_3) | instid1(VALU_DEP_1)
	s_cmp_eq_u32 s0, 0
	s_waitcnt lgkmcnt(3)
	v_add3_u32 v1, v1, v3, v6
	s_waitcnt lgkmcnt(2)
	v_add3_u32 v1, v1, v7, v8
	s_waitcnt lgkmcnt(1)
	s_delay_alu instid0(VALU_DEP_1) | instskip(SKIP_1) | instid1(VALU_DEP_1)
	v_add3_u32 v1, v1, v9, v10
	s_waitcnt lgkmcnt(0)
	v_add3_u32 v1, v1, v11, v12
	s_delay_alu instid0(VALU_DEP_1) | instskip(NEXT) | instid1(VALU_DEP_1)
	v_mov_b32_dpp v6, v1 quad_perm:[1,0,3,2] row_mask:0xf bank_mask:0xf
	v_add_nc_u32_e32 v1, v6, v1
	s_delay_alu instid0(VALU_DEP_1) | instskip(NEXT) | instid1(VALU_DEP_1)
	v_mov_b32_dpp v6, v1 quad_perm:[2,3,0,1] row_mask:0xf bank_mask:0xf
	v_add_nc_u32_e32 v1, v1, v6
	s_delay_alu instid0(VALU_DEP_1) | instskip(NEXT) | instid1(VALU_DEP_1)
	v_mov_b32_dpp v6, v1 row_ror:4 row_mask:0xf bank_mask:0xf
	v_add_nc_u32_e32 v1, v1, v6
	s_delay_alu instid0(VALU_DEP_1) | instskip(NEXT) | instid1(VALU_DEP_1)
	v_mov_b32_dpp v6, v1 row_ror:8 row_mask:0xf bank_mask:0xf
	v_add_nc_u32_e32 v1, v1, v6
	ds_swizzle_b32 v6, v1 offset:swizzle(BROADCAST,32,15)
	s_waitcnt lgkmcnt(0)
	v_add_nc_u32_e32 v1, v1, v6
	ds_bpermute_b32 v1, v5, v1
	s_cbranch_scc0 .LBB177_1
; %bb.2:
	s_set_inst_prefetch_distance 0x2
	s_mov_b32 s5, 0
	s_mov_b32 s0, exec_lo
	v_cmpx_eq_u32_e32 0, v0
	s_cbranch_execz .LBB177_4
; %bb.3:
	s_lshl_b64 s[0:1], s[4:5], 2
	v_mov_b32_e32 v0, 0
	s_add_u32 s0, s2, s0
	s_addc_u32 s1, s3, s1
	s_waitcnt lgkmcnt(0)
	global_store_b32 v0, v1, s[0:1]
.LBB177_4:
	s_nop 0
	s_sendmsg sendmsg(MSG_DEALLOC_VGPRS)
	s_endpgm
	.section	.rodata,"a",@progbits
	.p2align	6, 0x0
	.amdhsa_kernel _Z6kernelI6reduceILN6hipcub20BlockReduceAlgorithmE2EEiLj256ELj3ELj100EEvPKT0_PS4_
		.amdhsa_group_segment_fixed_size 1024
		.amdhsa_private_segment_fixed_size 0
		.amdhsa_kernarg_size 272
		.amdhsa_user_sgpr_count 15
		.amdhsa_user_sgpr_dispatch_ptr 0
		.amdhsa_user_sgpr_queue_ptr 0
		.amdhsa_user_sgpr_kernarg_segment_ptr 1
		.amdhsa_user_sgpr_dispatch_id 0
		.amdhsa_user_sgpr_private_segment_size 0
		.amdhsa_wavefront_size32 1
		.amdhsa_uses_dynamic_stack 0
		.amdhsa_enable_private_segment 0
		.amdhsa_system_sgpr_workgroup_id_x 1
		.amdhsa_system_sgpr_workgroup_id_y 0
		.amdhsa_system_sgpr_workgroup_id_z 0
		.amdhsa_system_sgpr_workgroup_info 0
		.amdhsa_system_vgpr_workitem_id 0
		.amdhsa_next_free_vgpr 13
		.amdhsa_next_free_sgpr 16
		.amdhsa_reserve_vcc 1
		.amdhsa_float_round_mode_32 0
		.amdhsa_float_round_mode_16_64 0
		.amdhsa_float_denorm_mode_32 3
		.amdhsa_float_denorm_mode_16_64 3
		.amdhsa_dx10_clamp 1
		.amdhsa_ieee_mode 1
		.amdhsa_fp16_overflow 0
		.amdhsa_workgroup_processor_mode 1
		.amdhsa_memory_ordered 1
		.amdhsa_forward_progress 0
		.amdhsa_shared_vgpr_count 0
		.amdhsa_exception_fp_ieee_invalid_op 0
		.amdhsa_exception_fp_denorm_src 0
		.amdhsa_exception_fp_ieee_div_zero 0
		.amdhsa_exception_fp_ieee_overflow 0
		.amdhsa_exception_fp_ieee_underflow 0
		.amdhsa_exception_fp_ieee_inexact 0
		.amdhsa_exception_int_div_zero 0
	.end_amdhsa_kernel
	.section	.text._Z6kernelI6reduceILN6hipcub20BlockReduceAlgorithmE2EEiLj256ELj3ELj100EEvPKT0_PS4_,"axG",@progbits,_Z6kernelI6reduceILN6hipcub20BlockReduceAlgorithmE2EEiLj256ELj3ELj100EEvPKT0_PS4_,comdat
.Lfunc_end177:
	.size	_Z6kernelI6reduceILN6hipcub20BlockReduceAlgorithmE2EEiLj256ELj3ELj100EEvPKT0_PS4_, .Lfunc_end177-_Z6kernelI6reduceILN6hipcub20BlockReduceAlgorithmE2EEiLj256ELj3ELj100EEvPKT0_PS4_
                                        ; -- End function
	.section	.AMDGPU.csdata,"",@progbits
; Kernel info:
; codeLenInByte = 460
; NumSgprs: 18
; NumVgprs: 13
; ScratchSize: 0
; MemoryBound: 0
; FloatMode: 240
; IeeeMode: 1
; LDSByteSize: 1024 bytes/workgroup (compile time only)
; SGPRBlocks: 2
; VGPRBlocks: 1
; NumSGPRsForWavesPerEU: 18
; NumVGPRsForWavesPerEU: 13
; Occupancy: 16
; WaveLimiterHint : 0
; COMPUTE_PGM_RSRC2:SCRATCH_EN: 0
; COMPUTE_PGM_RSRC2:USER_SGPR: 15
; COMPUTE_PGM_RSRC2:TRAP_HANDLER: 0
; COMPUTE_PGM_RSRC2:TGID_X_EN: 1
; COMPUTE_PGM_RSRC2:TGID_Y_EN: 0
; COMPUTE_PGM_RSRC2:TGID_Z_EN: 0
; COMPUTE_PGM_RSRC2:TIDIG_COMP_CNT: 0
	.section	.text._Z6kernelI6reduceILN6hipcub20BlockReduceAlgorithmE2EEiLj256ELj4ELj100EEvPKT0_PS4_,"axG",@progbits,_Z6kernelI6reduceILN6hipcub20BlockReduceAlgorithmE2EEiLj256ELj4ELj100EEvPKT0_PS4_,comdat
	.protected	_Z6kernelI6reduceILN6hipcub20BlockReduceAlgorithmE2EEiLj256ELj4ELj100EEvPKT0_PS4_ ; -- Begin function _Z6kernelI6reduceILN6hipcub20BlockReduceAlgorithmE2EEiLj256ELj4ELj100EEvPKT0_PS4_
	.globl	_Z6kernelI6reduceILN6hipcub20BlockReduceAlgorithmE2EEiLj256ELj4ELj100EEvPKT0_PS4_
	.p2align	8
	.type	_Z6kernelI6reduceILN6hipcub20BlockReduceAlgorithmE2EEiLj256ELj4ELj100EEvPKT0_PS4_,@function
_Z6kernelI6reduceILN6hipcub20BlockReduceAlgorithmE2EEiLj256ELj4ELj100EEvPKT0_PS4_: ; @_Z6kernelI6reduceILN6hipcub20BlockReduceAlgorithmE2EEiLj256ELj4ELj100EEvPKT0_PS4_
; %bb.0:
	s_clause 0x1
	s_load_b32 s5, s[0:1], 0x1c
	s_load_b128 s[0:3], s[0:1], 0x0
	v_dual_mov_b32 v2, 0 :: v_dual_lshlrev_b32 v5, 2, v0
	v_mov_b32_e32 v6, 0x7c
	s_mov_b32 s4, s15
	s_waitcnt lgkmcnt(0)
	s_and_b32 s5, s5, 0xffff
	s_delay_alu instid0(SALU_CYCLE_1) | instskip(NEXT) | instid1(SALU_CYCLE_1)
	s_mul_i32 s5, s15, s5
	v_add_lshl_u32 v1, s5, v0, 2
	s_delay_alu instid0(VALU_DEP_1) | instskip(NEXT) | instid1(VALU_DEP_1)
	v_lshlrev_b64 v[1:2], 2, v[1:2]
	v_add_co_u32 v1, vcc_lo, s0, v1
	s_delay_alu instid0(VALU_DEP_2)
	v_add_co_ci_u32_e32 v2, vcc_lo, s1, v2, vcc_lo
	s_movk_i32 s0, 0x64
	global_load_b128 v[1:4], v[1:2], off
	s_set_inst_prefetch_distance 0x1
	.p2align	6
.LBB178_1:                              ; =>This Inner Loop Header: Depth=1
	s_waitcnt vmcnt(0) lgkmcnt(0)
	s_barrier
	buffer_gl0_inv
	ds_load_2addr_b32 v[7:8], v5 offset0:32 offset1:64
	ds_load_2addr_b32 v[9:10], v5 offset0:96 offset1:128
	;; [unrolled: 1-line block ×3, first 2 shown]
	v_add3_u32 v1, v2, v1, v3
	ds_load_b32 v13, v5 offset:896
	s_add_i32 s0, s0, -1
	s_delay_alu instid0(SALU_CYCLE_1) | instskip(SKIP_3) | instid1(VALU_DEP_1)
	s_cmp_eq_u32 s0, 0
	s_waitcnt lgkmcnt(3)
	v_add3_u32 v1, v1, v4, v7
	s_waitcnt lgkmcnt(2)
	v_add3_u32 v1, v1, v8, v9
	s_waitcnt lgkmcnt(1)
	s_delay_alu instid0(VALU_DEP_1) | instskip(SKIP_1) | instid1(VALU_DEP_1)
	v_add3_u32 v1, v1, v10, v11
	s_waitcnt lgkmcnt(0)
	v_add3_u32 v1, v1, v12, v13
	s_delay_alu instid0(VALU_DEP_1) | instskip(NEXT) | instid1(VALU_DEP_1)
	v_mov_b32_dpp v7, v1 quad_perm:[1,0,3,2] row_mask:0xf bank_mask:0xf
	v_add_nc_u32_e32 v1, v7, v1
	s_delay_alu instid0(VALU_DEP_1) | instskip(NEXT) | instid1(VALU_DEP_1)
	v_mov_b32_dpp v7, v1 quad_perm:[2,3,0,1] row_mask:0xf bank_mask:0xf
	v_add_nc_u32_e32 v1, v1, v7
	s_delay_alu instid0(VALU_DEP_1) | instskip(NEXT) | instid1(VALU_DEP_1)
	v_mov_b32_dpp v7, v1 row_ror:4 row_mask:0xf bank_mask:0xf
	v_add_nc_u32_e32 v1, v1, v7
	s_delay_alu instid0(VALU_DEP_1) | instskip(NEXT) | instid1(VALU_DEP_1)
	v_mov_b32_dpp v7, v1 row_ror:8 row_mask:0xf bank_mask:0xf
	v_add_nc_u32_e32 v1, v1, v7
	ds_swizzle_b32 v7, v1 offset:swizzle(BROADCAST,32,15)
	s_waitcnt lgkmcnt(0)
	v_add_nc_u32_e32 v1, v1, v7
	ds_bpermute_b32 v1, v6, v1
	s_cbranch_scc0 .LBB178_1
; %bb.2:
	s_set_inst_prefetch_distance 0x2
	s_mov_b32 s5, 0
	s_mov_b32 s0, exec_lo
	v_cmpx_eq_u32_e32 0, v0
	s_cbranch_execz .LBB178_4
; %bb.3:
	s_lshl_b64 s[0:1], s[4:5], 2
	v_mov_b32_e32 v0, 0
	s_add_u32 s0, s2, s0
	s_addc_u32 s1, s3, s1
	s_waitcnt lgkmcnt(0)
	global_store_b32 v0, v1, s[0:1]
.LBB178_4:
	s_nop 0
	s_sendmsg sendmsg(MSG_DEALLOC_VGPRS)
	s_endpgm
	.section	.rodata,"a",@progbits
	.p2align	6, 0x0
	.amdhsa_kernel _Z6kernelI6reduceILN6hipcub20BlockReduceAlgorithmE2EEiLj256ELj4ELj100EEvPKT0_PS4_
		.amdhsa_group_segment_fixed_size 1024
		.amdhsa_private_segment_fixed_size 0
		.amdhsa_kernarg_size 272
		.amdhsa_user_sgpr_count 15
		.amdhsa_user_sgpr_dispatch_ptr 0
		.amdhsa_user_sgpr_queue_ptr 0
		.amdhsa_user_sgpr_kernarg_segment_ptr 1
		.amdhsa_user_sgpr_dispatch_id 0
		.amdhsa_user_sgpr_private_segment_size 0
		.amdhsa_wavefront_size32 1
		.amdhsa_uses_dynamic_stack 0
		.amdhsa_enable_private_segment 0
		.amdhsa_system_sgpr_workgroup_id_x 1
		.amdhsa_system_sgpr_workgroup_id_y 0
		.amdhsa_system_sgpr_workgroup_id_z 0
		.amdhsa_system_sgpr_workgroup_info 0
		.amdhsa_system_vgpr_workitem_id 0
		.amdhsa_next_free_vgpr 14
		.amdhsa_next_free_sgpr 16
		.amdhsa_reserve_vcc 1
		.amdhsa_float_round_mode_32 0
		.amdhsa_float_round_mode_16_64 0
		.amdhsa_float_denorm_mode_32 3
		.amdhsa_float_denorm_mode_16_64 3
		.amdhsa_dx10_clamp 1
		.amdhsa_ieee_mode 1
		.amdhsa_fp16_overflow 0
		.amdhsa_workgroup_processor_mode 1
		.amdhsa_memory_ordered 1
		.amdhsa_forward_progress 0
		.amdhsa_shared_vgpr_count 0
		.amdhsa_exception_fp_ieee_invalid_op 0
		.amdhsa_exception_fp_denorm_src 0
		.amdhsa_exception_fp_ieee_div_zero 0
		.amdhsa_exception_fp_ieee_overflow 0
		.amdhsa_exception_fp_ieee_underflow 0
		.amdhsa_exception_fp_ieee_inexact 0
		.amdhsa_exception_int_div_zero 0
	.end_amdhsa_kernel
	.section	.text._Z6kernelI6reduceILN6hipcub20BlockReduceAlgorithmE2EEiLj256ELj4ELj100EEvPKT0_PS4_,"axG",@progbits,_Z6kernelI6reduceILN6hipcub20BlockReduceAlgorithmE2EEiLj256ELj4ELj100EEvPKT0_PS4_,comdat
.Lfunc_end178:
	.size	_Z6kernelI6reduceILN6hipcub20BlockReduceAlgorithmE2EEiLj256ELj4ELj100EEvPKT0_PS4_, .Lfunc_end178-_Z6kernelI6reduceILN6hipcub20BlockReduceAlgorithmE2EEiLj256ELj4ELj100EEvPKT0_PS4_
                                        ; -- End function
	.section	.AMDGPU.csdata,"",@progbits
; Kernel info:
; codeLenInByte = 384
; NumSgprs: 18
; NumVgprs: 14
; ScratchSize: 0
; MemoryBound: 0
; FloatMode: 240
; IeeeMode: 1
; LDSByteSize: 1024 bytes/workgroup (compile time only)
; SGPRBlocks: 2
; VGPRBlocks: 1
; NumSGPRsForWavesPerEU: 18
; NumVGPRsForWavesPerEU: 14
; Occupancy: 16
; WaveLimiterHint : 0
; COMPUTE_PGM_RSRC2:SCRATCH_EN: 0
; COMPUTE_PGM_RSRC2:USER_SGPR: 15
; COMPUTE_PGM_RSRC2:TRAP_HANDLER: 0
; COMPUTE_PGM_RSRC2:TGID_X_EN: 1
; COMPUTE_PGM_RSRC2:TGID_Y_EN: 0
; COMPUTE_PGM_RSRC2:TGID_Z_EN: 0
; COMPUTE_PGM_RSRC2:TIDIG_COMP_CNT: 0
	.section	.text._Z6kernelI6reduceILN6hipcub20BlockReduceAlgorithmE2EEiLj256ELj8ELj100EEvPKT0_PS4_,"axG",@progbits,_Z6kernelI6reduceILN6hipcub20BlockReduceAlgorithmE2EEiLj256ELj8ELj100EEvPKT0_PS4_,comdat
	.protected	_Z6kernelI6reduceILN6hipcub20BlockReduceAlgorithmE2EEiLj256ELj8ELj100EEvPKT0_PS4_ ; -- Begin function _Z6kernelI6reduceILN6hipcub20BlockReduceAlgorithmE2EEiLj256ELj8ELj100EEvPKT0_PS4_
	.globl	_Z6kernelI6reduceILN6hipcub20BlockReduceAlgorithmE2EEiLj256ELj8ELj100EEvPKT0_PS4_
	.p2align	8
	.type	_Z6kernelI6reduceILN6hipcub20BlockReduceAlgorithmE2EEiLj256ELj8ELj100EEvPKT0_PS4_,@function
_Z6kernelI6reduceILN6hipcub20BlockReduceAlgorithmE2EEiLj256ELj8ELj100EEvPKT0_PS4_: ; @_Z6kernelI6reduceILN6hipcub20BlockReduceAlgorithmE2EEiLj256ELj8ELj100EEvPKT0_PS4_
; %bb.0:
	s_clause 0x1
	s_load_b32 s5, s[0:1], 0x1c
	s_load_b128 s[0:3], s[0:1], 0x0
	v_dual_mov_b32 v2, 0 :: v_dual_lshlrev_b32 v9, 2, v0
	v_mov_b32_e32 v10, 0x7c
	s_mov_b32 s4, s15
	s_waitcnt lgkmcnt(0)
	s_and_b32 s5, s5, 0xffff
	s_delay_alu instid0(SALU_CYCLE_1) | instskip(NEXT) | instid1(SALU_CYCLE_1)
	s_mul_i32 s5, s15, s5
	v_add_lshl_u32 v1, s5, v0, 3
	s_delay_alu instid0(VALU_DEP_1) | instskip(NEXT) | instid1(VALU_DEP_1)
	v_lshlrev_b64 v[1:2], 2, v[1:2]
	v_add_co_u32 v5, vcc_lo, s0, v1
	s_delay_alu instid0(VALU_DEP_2)
	v_add_co_ci_u32_e32 v6, vcc_lo, s1, v2, vcc_lo
	s_movk_i32 s0, 0x64
	s_clause 0x1
	global_load_b128 v[1:4], v[5:6], off
	global_load_b128 v[5:8], v[5:6], off offset:16
	s_set_inst_prefetch_distance 0x1
	.p2align	6
.LBB179_1:                              ; =>This Inner Loop Header: Depth=1
	s_waitcnt vmcnt(0) lgkmcnt(0)
	s_barrier
	buffer_gl0_inv
	ds_load_2addr_b32 v[11:12], v9 offset0:32 offset1:64
	v_add3_u32 v1, v2, v1, v3
	ds_load_2addr_b32 v[13:14], v9 offset0:96 offset1:128
	ds_load_2addr_b32 v[15:16], v9 offset0:160 offset1:192
	ds_load_b32 v17, v9 offset:896
	s_add_i32 s0, s0, -1
	v_add3_u32 v1, v1, v4, v5
	s_cmp_eq_u32 s0, 0
	s_delay_alu instid0(VALU_DEP_1) | instskip(SKIP_1) | instid1(VALU_DEP_1)
	v_add3_u32 v1, v1, v6, v7
	s_waitcnt lgkmcnt(3)
	v_add3_u32 v1, v1, v8, v11
	s_waitcnt lgkmcnt(2)
	s_delay_alu instid0(VALU_DEP_1) | instskip(SKIP_1) | instid1(VALU_DEP_1)
	v_add3_u32 v1, v1, v12, v13
	s_waitcnt lgkmcnt(1)
	v_add3_u32 v1, v1, v14, v15
	s_waitcnt lgkmcnt(0)
	s_delay_alu instid0(VALU_DEP_1) | instskip(NEXT) | instid1(VALU_DEP_1)
	v_add3_u32 v1, v1, v16, v17
	v_mov_b32_dpp v11, v1 quad_perm:[1,0,3,2] row_mask:0xf bank_mask:0xf
	s_delay_alu instid0(VALU_DEP_1) | instskip(NEXT) | instid1(VALU_DEP_1)
	v_add_nc_u32_e32 v1, v1, v11
	v_mov_b32_dpp v11, v1 quad_perm:[2,3,0,1] row_mask:0xf bank_mask:0xf
	s_delay_alu instid0(VALU_DEP_1) | instskip(NEXT) | instid1(VALU_DEP_1)
	v_add_nc_u32_e32 v1, v1, v11
	v_mov_b32_dpp v11, v1 row_ror:4 row_mask:0xf bank_mask:0xf
	s_delay_alu instid0(VALU_DEP_1) | instskip(NEXT) | instid1(VALU_DEP_1)
	v_add_nc_u32_e32 v1, v1, v11
	v_mov_b32_dpp v11, v1 row_ror:8 row_mask:0xf bank_mask:0xf
	s_delay_alu instid0(VALU_DEP_1)
	v_add_nc_u32_e32 v1, v1, v11
	ds_swizzle_b32 v11, v1 offset:swizzle(BROADCAST,32,15)
	s_waitcnt lgkmcnt(0)
	v_add_nc_u32_e32 v1, v1, v11
	ds_bpermute_b32 v1, v10, v1
	s_cbranch_scc0 .LBB179_1
; %bb.2:
	s_set_inst_prefetch_distance 0x2
	s_mov_b32 s5, 0
	s_mov_b32 s0, exec_lo
	v_cmpx_eq_u32_e32 0, v0
	s_cbranch_execz .LBB179_4
; %bb.3:
	s_lshl_b64 s[0:1], s[4:5], 2
	v_mov_b32_e32 v0, 0
	s_add_u32 s0, s2, s0
	s_addc_u32 s1, s3, s1
	s_waitcnt lgkmcnt(0)
	global_store_b32 v0, v1, s[0:1]
.LBB179_4:
	s_nop 0
	s_sendmsg sendmsg(MSG_DEALLOC_VGPRS)
	s_endpgm
	.section	.rodata,"a",@progbits
	.p2align	6, 0x0
	.amdhsa_kernel _Z6kernelI6reduceILN6hipcub20BlockReduceAlgorithmE2EEiLj256ELj8ELj100EEvPKT0_PS4_
		.amdhsa_group_segment_fixed_size 1024
		.amdhsa_private_segment_fixed_size 0
		.amdhsa_kernarg_size 272
		.amdhsa_user_sgpr_count 15
		.amdhsa_user_sgpr_dispatch_ptr 0
		.amdhsa_user_sgpr_queue_ptr 0
		.amdhsa_user_sgpr_kernarg_segment_ptr 1
		.amdhsa_user_sgpr_dispatch_id 0
		.amdhsa_user_sgpr_private_segment_size 0
		.amdhsa_wavefront_size32 1
		.amdhsa_uses_dynamic_stack 0
		.amdhsa_enable_private_segment 0
		.amdhsa_system_sgpr_workgroup_id_x 1
		.amdhsa_system_sgpr_workgroup_id_y 0
		.amdhsa_system_sgpr_workgroup_id_z 0
		.amdhsa_system_sgpr_workgroup_info 0
		.amdhsa_system_vgpr_workitem_id 0
		.amdhsa_next_free_vgpr 18
		.amdhsa_next_free_sgpr 16
		.amdhsa_reserve_vcc 1
		.amdhsa_float_round_mode_32 0
		.amdhsa_float_round_mode_16_64 0
		.amdhsa_float_denorm_mode_32 3
		.amdhsa_float_denorm_mode_16_64 3
		.amdhsa_dx10_clamp 1
		.amdhsa_ieee_mode 1
		.amdhsa_fp16_overflow 0
		.amdhsa_workgroup_processor_mode 1
		.amdhsa_memory_ordered 1
		.amdhsa_forward_progress 0
		.amdhsa_shared_vgpr_count 0
		.amdhsa_exception_fp_ieee_invalid_op 0
		.amdhsa_exception_fp_denorm_src 0
		.amdhsa_exception_fp_ieee_div_zero 0
		.amdhsa_exception_fp_ieee_overflow 0
		.amdhsa_exception_fp_ieee_underflow 0
		.amdhsa_exception_fp_ieee_inexact 0
		.amdhsa_exception_int_div_zero 0
	.end_amdhsa_kernel
	.section	.text._Z6kernelI6reduceILN6hipcub20BlockReduceAlgorithmE2EEiLj256ELj8ELj100EEvPKT0_PS4_,"axG",@progbits,_Z6kernelI6reduceILN6hipcub20BlockReduceAlgorithmE2EEiLj256ELj8ELj100EEvPKT0_PS4_,comdat
.Lfunc_end179:
	.size	_Z6kernelI6reduceILN6hipcub20BlockReduceAlgorithmE2EEiLj256ELj8ELj100EEvPKT0_PS4_, .Lfunc_end179-_Z6kernelI6reduceILN6hipcub20BlockReduceAlgorithmE2EEiLj256ELj8ELj100EEvPKT0_PS4_
                                        ; -- End function
	.section	.AMDGPU.csdata,"",@progbits
; Kernel info:
; codeLenInByte = 416
; NumSgprs: 18
; NumVgprs: 18
; ScratchSize: 0
; MemoryBound: 0
; FloatMode: 240
; IeeeMode: 1
; LDSByteSize: 1024 bytes/workgroup (compile time only)
; SGPRBlocks: 2
; VGPRBlocks: 2
; NumSGPRsForWavesPerEU: 18
; NumVGPRsForWavesPerEU: 18
; Occupancy: 16
; WaveLimiterHint : 0
; COMPUTE_PGM_RSRC2:SCRATCH_EN: 0
; COMPUTE_PGM_RSRC2:USER_SGPR: 15
; COMPUTE_PGM_RSRC2:TRAP_HANDLER: 0
; COMPUTE_PGM_RSRC2:TGID_X_EN: 1
; COMPUTE_PGM_RSRC2:TGID_Y_EN: 0
; COMPUTE_PGM_RSRC2:TGID_Z_EN: 0
; COMPUTE_PGM_RSRC2:TIDIG_COMP_CNT: 0
	.section	.text._Z6kernelI6reduceILN6hipcub20BlockReduceAlgorithmE2EEiLj256ELj11ELj100EEvPKT0_PS4_,"axG",@progbits,_Z6kernelI6reduceILN6hipcub20BlockReduceAlgorithmE2EEiLj256ELj11ELj100EEvPKT0_PS4_,comdat
	.protected	_Z6kernelI6reduceILN6hipcub20BlockReduceAlgorithmE2EEiLj256ELj11ELj100EEvPKT0_PS4_ ; -- Begin function _Z6kernelI6reduceILN6hipcub20BlockReduceAlgorithmE2EEiLj256ELj11ELj100EEvPKT0_PS4_
	.globl	_Z6kernelI6reduceILN6hipcub20BlockReduceAlgorithmE2EEiLj256ELj11ELj100EEvPKT0_PS4_
	.p2align	8
	.type	_Z6kernelI6reduceILN6hipcub20BlockReduceAlgorithmE2EEiLj256ELj11ELj100EEvPKT0_PS4_,@function
_Z6kernelI6reduceILN6hipcub20BlockReduceAlgorithmE2EEiLj256ELj11ELj100EEvPKT0_PS4_: ; @_Z6kernelI6reduceILN6hipcub20BlockReduceAlgorithmE2EEiLj256ELj11ELj100EEvPKT0_PS4_
; %bb.0:
	s_load_b32 s2, s[0:1], 0x1c
	s_mov_b32 s4, s15
	s_waitcnt lgkmcnt(0)
	s_and_b32 s2, s2, 0xffff
	s_delay_alu instid0(SALU_CYCLE_1) | instskip(SKIP_1) | instid1(VALU_DEP_1)
	v_mad_u64_u32 v[1:2], null, s4, s2, v[0:1]
	s_load_b128 s[0:3], s[0:1], 0x0
	v_mul_lo_u32 v1, v1, 11
	s_delay_alu instid0(VALU_DEP_1) | instskip(NEXT) | instid1(VALU_DEP_1)
	v_dual_mov_b32 v2, 0 :: v_dual_add_nc_u32 v3, 1, v1
	v_dual_mov_b32 v4, v2 :: v_dual_add_nc_u32 v5, 2, v1
	;; [unrolled: 1-line block ×4, first 2 shown]
	s_delay_alu instid0(VALU_DEP_3) | instskip(NEXT) | instid1(VALU_DEP_3)
	v_lshlrev_b64 v[3:4], 2, v[3:4]
	v_lshlrev_b64 v[5:6], 2, v[5:6]
	v_dual_mov_b32 v10, v2 :: v_dual_add_nc_u32 v11, 5, v1
	s_delay_alu instid0(VALU_DEP_4)
	v_lshlrev_b64 v[7:8], 2, v[7:8]
	v_dual_mov_b32 v12, v2 :: v_dual_add_nc_u32 v13, 6, v1
	s_waitcnt lgkmcnt(0)
	v_add_co_u32 v3, vcc_lo, s0, v3
	v_add_co_ci_u32_e32 v4, vcc_lo, s1, v4, vcc_lo
	v_lshlrev_b64 v[9:10], 2, v[9:10]
	v_add_co_u32 v5, vcc_lo, s0, v5
	v_dual_mov_b32 v14, v2 :: v_dual_add_nc_u32 v15, 7, v1
	v_add_co_ci_u32_e32 v6, vcc_lo, s1, v6, vcc_lo
	v_lshlrev_b64 v[11:12], 2, v[11:12]
	v_add_co_u32 v7, vcc_lo, s0, v7
	v_dual_mov_b32 v16, v2 :: v_dual_add_nc_u32 v19, 8, v1
	;; [unrolled: 4-line block ×3, first 2 shown]
	v_add_co_ci_u32_e32 v10, vcc_lo, s1, v10, vcc_lo
	v_lshlrev_b64 v[15:16], 2, v[15:16]
	v_add_co_u32 v11, vcc_lo, s0, v11
	v_add_co_ci_u32_e32 v12, vcc_lo, s1, v12, vcc_lo
	v_add_co_u32 v13, vcc_lo, s0, v13
	v_lshlrev_b64 v[19:20], 2, v[19:20]
	v_mov_b32_e32 v22, v2
	v_add_co_ci_u32_e32 v14, vcc_lo, s1, v14, vcc_lo
	v_add_co_u32 v15, vcc_lo, s0, v15
	v_lshlrev_b64 v[17:18], 2, v[1:2]
	v_add_nc_u32_e32 v1, 10, v1
	v_add_co_ci_u32_e32 v16, vcc_lo, s1, v16, vcc_lo
	v_add_co_u32 v19, vcc_lo, s0, v19
	v_lshlrev_b64 v[21:22], 2, v[21:22]
	v_add_co_ci_u32_e32 v20, vcc_lo, s1, v20, vcc_lo
	s_clause 0x7
	global_load_b32 v23, v[3:4], off
	global_load_b32 v24, v[5:6], off
	;; [unrolled: 1-line block ×8, first 2 shown]
	v_lshlrev_b64 v[1:2], 2, v[1:2]
	v_add_co_u32 v3, vcc_lo, s0, v21
	v_add_co_ci_u32_e32 v4, vcc_lo, s1, v22, vcc_lo
	s_delay_alu instid0(VALU_DEP_3) | instskip(NEXT) | instid1(VALU_DEP_4)
	v_add_co_u32 v1, vcc_lo, s0, v1
	v_add_co_ci_u32_e32 v2, vcc_lo, s1, v2, vcc_lo
	v_add_co_u32 v5, vcc_lo, s0, v17
	v_add_co_ci_u32_e32 v6, vcc_lo, s1, v18, vcc_lo
	s_clause 0x2
	global_load_b32 v4, v[3:4], off
	global_load_b32 v13, v[1:2], off
	;; [unrolled: 1-line block ×3, first 2 shown]
	s_movk_i32 s0, 0x64
	s_waitcnt vmcnt(9)
	v_dual_mov_b32 v3, 0x7c :: v_dual_add_nc_u32 v2, v24, v23
	s_waitcnt vmcnt(7)
	s_delay_alu instid0(VALU_DEP_1) | instskip(SKIP_1) | instid1(VALU_DEP_1)
	v_add3_u32 v2, v2, v7, v8
	s_waitcnt vmcnt(5)
	v_add3_u32 v2, v2, v9, v10
	s_waitcnt vmcnt(3)
	s_delay_alu instid0(VALU_DEP_1) | instskip(SKIP_2) | instid1(VALU_DEP_2)
	v_add3_u32 v5, v2, v11, v12
	v_lshlrev_b32_e32 v2, 2, v0
	s_waitcnt vmcnt(1)
	v_add3_u32 v4, v5, v4, v13
	s_set_inst_prefetch_distance 0x1
	.p2align	6
.LBB180_1:                              ; =>This Inner Loop Header: Depth=1
	s_waitcnt vmcnt(0) lgkmcnt(0)
	s_barrier
	buffer_gl0_inv
	ds_load_2addr_b32 v[5:6], v2 offset0:32 offset1:64
	ds_load_2addr_b32 v[7:8], v2 offset0:96 offset1:128
	;; [unrolled: 1-line block ×3, first 2 shown]
	ds_load_b32 v11, v2 offset:896
	s_add_i32 s0, s0, -1
	s_delay_alu instid0(SALU_CYCLE_1) | instskip(SKIP_3) | instid1(VALU_DEP_1)
	s_cmp_eq_u32 s0, 0
	s_waitcnt lgkmcnt(3)
	v_add3_u32 v1, v4, v1, v5
	s_waitcnt lgkmcnt(2)
	v_add3_u32 v1, v1, v6, v7
	s_waitcnt lgkmcnt(1)
	s_delay_alu instid0(VALU_DEP_1) | instskip(SKIP_1) | instid1(VALU_DEP_1)
	v_add3_u32 v1, v1, v8, v9
	s_waitcnt lgkmcnt(0)
	v_add3_u32 v1, v1, v10, v11
	s_delay_alu instid0(VALU_DEP_1) | instskip(NEXT) | instid1(VALU_DEP_1)
	v_mov_b32_dpp v5, v1 quad_perm:[1,0,3,2] row_mask:0xf bank_mask:0xf
	v_add_nc_u32_e32 v1, v1, v5
	s_delay_alu instid0(VALU_DEP_1) | instskip(NEXT) | instid1(VALU_DEP_1)
	v_mov_b32_dpp v5, v1 quad_perm:[2,3,0,1] row_mask:0xf bank_mask:0xf
	v_add_nc_u32_e32 v1, v1, v5
	s_delay_alu instid0(VALU_DEP_1) | instskip(NEXT) | instid1(VALU_DEP_1)
	v_mov_b32_dpp v5, v1 row_ror:4 row_mask:0xf bank_mask:0xf
	v_add_nc_u32_e32 v1, v1, v5
	s_delay_alu instid0(VALU_DEP_1) | instskip(NEXT) | instid1(VALU_DEP_1)
	v_mov_b32_dpp v5, v1 row_ror:8 row_mask:0xf bank_mask:0xf
	v_add_nc_u32_e32 v1, v1, v5
	ds_swizzle_b32 v5, v1 offset:swizzle(BROADCAST,32,15)
	s_waitcnt lgkmcnt(0)
	v_add_nc_u32_e32 v1, v1, v5
	ds_bpermute_b32 v1, v3, v1
	s_cbranch_scc0 .LBB180_1
; %bb.2:
	s_set_inst_prefetch_distance 0x2
	s_mov_b32 s5, 0
	s_mov_b32 s0, exec_lo
	v_cmpx_eq_u32_e32 0, v0
	s_cbranch_execz .LBB180_4
; %bb.3:
	s_lshl_b64 s[0:1], s[4:5], 2
	v_mov_b32_e32 v0, 0
	s_add_u32 s0, s2, s0
	s_addc_u32 s1, s3, s1
	s_waitcnt lgkmcnt(0)
	global_store_b32 v0, v1, s[0:1]
.LBB180_4:
	s_nop 0
	s_sendmsg sendmsg(MSG_DEALLOC_VGPRS)
	s_endpgm
	.section	.rodata,"a",@progbits
	.p2align	6, 0x0
	.amdhsa_kernel _Z6kernelI6reduceILN6hipcub20BlockReduceAlgorithmE2EEiLj256ELj11ELj100EEvPKT0_PS4_
		.amdhsa_group_segment_fixed_size 1024
		.amdhsa_private_segment_fixed_size 0
		.amdhsa_kernarg_size 272
		.amdhsa_user_sgpr_count 15
		.amdhsa_user_sgpr_dispatch_ptr 0
		.amdhsa_user_sgpr_queue_ptr 0
		.amdhsa_user_sgpr_kernarg_segment_ptr 1
		.amdhsa_user_sgpr_dispatch_id 0
		.amdhsa_user_sgpr_private_segment_size 0
		.amdhsa_wavefront_size32 1
		.amdhsa_uses_dynamic_stack 0
		.amdhsa_enable_private_segment 0
		.amdhsa_system_sgpr_workgroup_id_x 1
		.amdhsa_system_sgpr_workgroup_id_y 0
		.amdhsa_system_sgpr_workgroup_id_z 0
		.amdhsa_system_sgpr_workgroup_info 0
		.amdhsa_system_vgpr_workitem_id 0
		.amdhsa_next_free_vgpr 25
		.amdhsa_next_free_sgpr 16
		.amdhsa_reserve_vcc 1
		.amdhsa_float_round_mode_32 0
		.amdhsa_float_round_mode_16_64 0
		.amdhsa_float_denorm_mode_32 3
		.amdhsa_float_denorm_mode_16_64 3
		.amdhsa_dx10_clamp 1
		.amdhsa_ieee_mode 1
		.amdhsa_fp16_overflow 0
		.amdhsa_workgroup_processor_mode 1
		.amdhsa_memory_ordered 1
		.amdhsa_forward_progress 0
		.amdhsa_shared_vgpr_count 0
		.amdhsa_exception_fp_ieee_invalid_op 0
		.amdhsa_exception_fp_denorm_src 0
		.amdhsa_exception_fp_ieee_div_zero 0
		.amdhsa_exception_fp_ieee_overflow 0
		.amdhsa_exception_fp_ieee_underflow 0
		.amdhsa_exception_fp_ieee_inexact 0
		.amdhsa_exception_int_div_zero 0
	.end_amdhsa_kernel
	.section	.text._Z6kernelI6reduceILN6hipcub20BlockReduceAlgorithmE2EEiLj256ELj11ELj100EEvPKT0_PS4_,"axG",@progbits,_Z6kernelI6reduceILN6hipcub20BlockReduceAlgorithmE2EEiLj256ELj11ELj100EEvPKT0_PS4_,comdat
.Lfunc_end180:
	.size	_Z6kernelI6reduceILN6hipcub20BlockReduceAlgorithmE2EEiLj256ELj11ELj100EEvPKT0_PS4_, .Lfunc_end180-_Z6kernelI6reduceILN6hipcub20BlockReduceAlgorithmE2EEiLj256ELj11ELj100EEvPKT0_PS4_
                                        ; -- End function
	.section	.AMDGPU.csdata,"",@progbits
; Kernel info:
; codeLenInByte = 816
; NumSgprs: 18
; NumVgprs: 25
; ScratchSize: 0
; MemoryBound: 0
; FloatMode: 240
; IeeeMode: 1
; LDSByteSize: 1024 bytes/workgroup (compile time only)
; SGPRBlocks: 2
; VGPRBlocks: 3
; NumSGPRsForWavesPerEU: 18
; NumVGPRsForWavesPerEU: 25
; Occupancy: 16
; WaveLimiterHint : 0
; COMPUTE_PGM_RSRC2:SCRATCH_EN: 0
; COMPUTE_PGM_RSRC2:USER_SGPR: 15
; COMPUTE_PGM_RSRC2:TRAP_HANDLER: 0
; COMPUTE_PGM_RSRC2:TGID_X_EN: 1
; COMPUTE_PGM_RSRC2:TGID_Y_EN: 0
; COMPUTE_PGM_RSRC2:TGID_Z_EN: 0
; COMPUTE_PGM_RSRC2:TIDIG_COMP_CNT: 0
	.section	.text._Z6kernelI6reduceILN6hipcub20BlockReduceAlgorithmE2EEiLj256ELj16ELj100EEvPKT0_PS4_,"axG",@progbits,_Z6kernelI6reduceILN6hipcub20BlockReduceAlgorithmE2EEiLj256ELj16ELj100EEvPKT0_PS4_,comdat
	.protected	_Z6kernelI6reduceILN6hipcub20BlockReduceAlgorithmE2EEiLj256ELj16ELj100EEvPKT0_PS4_ ; -- Begin function _Z6kernelI6reduceILN6hipcub20BlockReduceAlgorithmE2EEiLj256ELj16ELj100EEvPKT0_PS4_
	.globl	_Z6kernelI6reduceILN6hipcub20BlockReduceAlgorithmE2EEiLj256ELj16ELj100EEvPKT0_PS4_
	.p2align	8
	.type	_Z6kernelI6reduceILN6hipcub20BlockReduceAlgorithmE2EEiLj256ELj16ELj100EEvPKT0_PS4_,@function
_Z6kernelI6reduceILN6hipcub20BlockReduceAlgorithmE2EEiLj256ELj16ELj100EEvPKT0_PS4_: ; @_Z6kernelI6reduceILN6hipcub20BlockReduceAlgorithmE2EEiLj256ELj16ELj100EEvPKT0_PS4_
; %bb.0:
	s_clause 0x1
	s_load_b32 s5, s[0:1], 0x1c
	s_load_b128 s[0:3], s[0:1], 0x0
	v_mov_b32_e32 v2, 0
	s_mov_b32 s4, s15
	s_waitcnt lgkmcnt(0)
	s_and_b32 s5, s5, 0xffff
	s_delay_alu instid0(SALU_CYCLE_1) | instskip(NEXT) | instid1(SALU_CYCLE_1)
	s_mul_i32 s5, s15, s5
	v_add_lshl_u32 v1, s5, v0, 4
	s_delay_alu instid0(VALU_DEP_1) | instskip(NEXT) | instid1(VALU_DEP_1)
	v_lshlrev_b64 v[1:2], 2, v[1:2]
	v_add_co_u32 v13, vcc_lo, s0, v1
	s_delay_alu instid0(VALU_DEP_2)
	v_add_co_ci_u32_e32 v14, vcc_lo, s1, v2, vcc_lo
	s_movk_i32 s0, 0x64
	s_clause 0x3
	global_load_b128 v[1:4], v[13:14], off
	global_load_b128 v[5:8], v[13:14], off offset:16
	global_load_b128 v[9:12], v[13:14], off offset:32
	;; [unrolled: 1-line block ×3, first 2 shown]
	s_waitcnt vmcnt(3)
	v_add3_u32 v2, v3, v2, v4
	v_mov_b32_e32 v3, 0x7c
	s_waitcnt vmcnt(2)
	s_delay_alu instid0(VALU_DEP_2) | instskip(NEXT) | instid1(VALU_DEP_1)
	v_add3_u32 v2, v2, v5, v6
	v_add3_u32 v2, v2, v7, v8
	s_waitcnt vmcnt(1)
	s_delay_alu instid0(VALU_DEP_1) | instskip(NEXT) | instid1(VALU_DEP_1)
	v_add3_u32 v2, v2, v9, v10
	v_add3_u32 v2, v2, v11, v12
	s_waitcnt vmcnt(0)
	s_delay_alu instid0(VALU_DEP_1) | instskip(SKIP_1) | instid1(VALU_DEP_2)
	v_add3_u32 v4, v2, v13, v14
	v_lshlrev_b32_e32 v2, 2, v0
	v_add3_u32 v4, v4, v15, v16
	s_set_inst_prefetch_distance 0x1
	.p2align	6
.LBB181_1:                              ; =>This Inner Loop Header: Depth=1
	s_waitcnt lgkmcnt(0)
	s_barrier
	buffer_gl0_inv
	ds_load_2addr_b32 v[5:6], v2 offset0:32 offset1:64
	ds_load_2addr_b32 v[7:8], v2 offset0:96 offset1:128
	;; [unrolled: 1-line block ×3, first 2 shown]
	ds_load_b32 v11, v2 offset:896
	s_add_i32 s0, s0, -1
	s_delay_alu instid0(SALU_CYCLE_1) | instskip(SKIP_3) | instid1(VALU_DEP_1)
	s_cmp_eq_u32 s0, 0
	s_waitcnt lgkmcnt(3)
	v_add3_u32 v1, v4, v1, v5
	s_waitcnt lgkmcnt(2)
	v_add3_u32 v1, v1, v6, v7
	s_waitcnt lgkmcnt(1)
	s_delay_alu instid0(VALU_DEP_1) | instskip(SKIP_1) | instid1(VALU_DEP_1)
	v_add3_u32 v1, v1, v8, v9
	s_waitcnt lgkmcnt(0)
	v_add3_u32 v1, v1, v10, v11
	s_delay_alu instid0(VALU_DEP_1) | instskip(NEXT) | instid1(VALU_DEP_1)
	v_mov_b32_dpp v5, v1 quad_perm:[1,0,3,2] row_mask:0xf bank_mask:0xf
	v_add_nc_u32_e32 v1, v1, v5
	s_delay_alu instid0(VALU_DEP_1) | instskip(NEXT) | instid1(VALU_DEP_1)
	v_mov_b32_dpp v5, v1 quad_perm:[2,3,0,1] row_mask:0xf bank_mask:0xf
	v_add_nc_u32_e32 v1, v1, v5
	s_delay_alu instid0(VALU_DEP_1) | instskip(NEXT) | instid1(VALU_DEP_1)
	v_mov_b32_dpp v5, v1 row_ror:4 row_mask:0xf bank_mask:0xf
	v_add_nc_u32_e32 v1, v1, v5
	s_delay_alu instid0(VALU_DEP_1) | instskip(NEXT) | instid1(VALU_DEP_1)
	v_mov_b32_dpp v5, v1 row_ror:8 row_mask:0xf bank_mask:0xf
	v_add_nc_u32_e32 v1, v1, v5
	ds_swizzle_b32 v5, v1 offset:swizzle(BROADCAST,32,15)
	s_waitcnt lgkmcnt(0)
	v_add_nc_u32_e32 v1, v1, v5
	ds_bpermute_b32 v1, v3, v1
	s_cbranch_scc0 .LBB181_1
; %bb.2:
	s_set_inst_prefetch_distance 0x2
	s_mov_b32 s5, 0
	s_mov_b32 s0, exec_lo
	v_cmpx_eq_u32_e32 0, v0
	s_cbranch_execz .LBB181_4
; %bb.3:
	s_lshl_b64 s[0:1], s[4:5], 2
	v_mov_b32_e32 v0, 0
	s_add_u32 s0, s2, s0
	s_addc_u32 s1, s3, s1
	s_waitcnt lgkmcnt(0)
	global_store_b32 v0, v1, s[0:1]
.LBB181_4:
	s_nop 0
	s_sendmsg sendmsg(MSG_DEALLOC_VGPRS)
	s_endpgm
	.section	.rodata,"a",@progbits
	.p2align	6, 0x0
	.amdhsa_kernel _Z6kernelI6reduceILN6hipcub20BlockReduceAlgorithmE2EEiLj256ELj16ELj100EEvPKT0_PS4_
		.amdhsa_group_segment_fixed_size 1024
		.amdhsa_private_segment_fixed_size 0
		.amdhsa_kernarg_size 272
		.amdhsa_user_sgpr_count 15
		.amdhsa_user_sgpr_dispatch_ptr 0
		.amdhsa_user_sgpr_queue_ptr 0
		.amdhsa_user_sgpr_kernarg_segment_ptr 1
		.amdhsa_user_sgpr_dispatch_id 0
		.amdhsa_user_sgpr_private_segment_size 0
		.amdhsa_wavefront_size32 1
		.amdhsa_uses_dynamic_stack 0
		.amdhsa_enable_private_segment 0
		.amdhsa_system_sgpr_workgroup_id_x 1
		.amdhsa_system_sgpr_workgroup_id_y 0
		.amdhsa_system_sgpr_workgroup_id_z 0
		.amdhsa_system_sgpr_workgroup_info 0
		.amdhsa_system_vgpr_workitem_id 0
		.amdhsa_next_free_vgpr 17
		.amdhsa_next_free_sgpr 16
		.amdhsa_reserve_vcc 1
		.amdhsa_float_round_mode_32 0
		.amdhsa_float_round_mode_16_64 0
		.amdhsa_float_denorm_mode_32 3
		.amdhsa_float_denorm_mode_16_64 3
		.amdhsa_dx10_clamp 1
		.amdhsa_ieee_mode 1
		.amdhsa_fp16_overflow 0
		.amdhsa_workgroup_processor_mode 1
		.amdhsa_memory_ordered 1
		.amdhsa_forward_progress 0
		.amdhsa_shared_vgpr_count 0
		.amdhsa_exception_fp_ieee_invalid_op 0
		.amdhsa_exception_fp_denorm_src 0
		.amdhsa_exception_fp_ieee_div_zero 0
		.amdhsa_exception_fp_ieee_overflow 0
		.amdhsa_exception_fp_ieee_underflow 0
		.amdhsa_exception_fp_ieee_inexact 0
		.amdhsa_exception_int_div_zero 0
	.end_amdhsa_kernel
	.section	.text._Z6kernelI6reduceILN6hipcub20BlockReduceAlgorithmE2EEiLj256ELj16ELj100EEvPKT0_PS4_,"axG",@progbits,_Z6kernelI6reduceILN6hipcub20BlockReduceAlgorithmE2EEiLj256ELj16ELj100EEvPKT0_PS4_,comdat
.Lfunc_end181:
	.size	_Z6kernelI6reduceILN6hipcub20BlockReduceAlgorithmE2EEiLj256ELj16ELj100EEvPKT0_PS4_, .Lfunc_end181-_Z6kernelI6reduceILN6hipcub20BlockReduceAlgorithmE2EEiLj256ELj16ELj100EEvPKT0_PS4_
                                        ; -- End function
	.section	.AMDGPU.csdata,"",@progbits
; Kernel info:
; codeLenInByte = 488
; NumSgprs: 18
; NumVgprs: 17
; ScratchSize: 0
; MemoryBound: 0
; FloatMode: 240
; IeeeMode: 1
; LDSByteSize: 1024 bytes/workgroup (compile time only)
; SGPRBlocks: 2
; VGPRBlocks: 2
; NumSGPRsForWavesPerEU: 18
; NumVGPRsForWavesPerEU: 17
; Occupancy: 16
; WaveLimiterHint : 0
; COMPUTE_PGM_RSRC2:SCRATCH_EN: 0
; COMPUTE_PGM_RSRC2:USER_SGPR: 15
; COMPUTE_PGM_RSRC2:TRAP_HANDLER: 0
; COMPUTE_PGM_RSRC2:TGID_X_EN: 1
; COMPUTE_PGM_RSRC2:TGID_Y_EN: 0
; COMPUTE_PGM_RSRC2:TGID_Z_EN: 0
; COMPUTE_PGM_RSRC2:TIDIG_COMP_CNT: 0
	.section	.text._Z6kernelI6reduceILN6hipcub20BlockReduceAlgorithmE2EEfLj256ELj1ELj100EEvPKT0_PS4_,"axG",@progbits,_Z6kernelI6reduceILN6hipcub20BlockReduceAlgorithmE2EEfLj256ELj1ELj100EEvPKT0_PS4_,comdat
	.protected	_Z6kernelI6reduceILN6hipcub20BlockReduceAlgorithmE2EEfLj256ELj1ELj100EEvPKT0_PS4_ ; -- Begin function _Z6kernelI6reduceILN6hipcub20BlockReduceAlgorithmE2EEfLj256ELj1ELj100EEvPKT0_PS4_
	.globl	_Z6kernelI6reduceILN6hipcub20BlockReduceAlgorithmE2EEfLj256ELj1ELj100EEvPKT0_PS4_
	.p2align	8
	.type	_Z6kernelI6reduceILN6hipcub20BlockReduceAlgorithmE2EEfLj256ELj1ELj100EEvPKT0_PS4_,@function
_Z6kernelI6reduceILN6hipcub20BlockReduceAlgorithmE2EEfLj256ELj1ELj100EEvPKT0_PS4_: ; @_Z6kernelI6reduceILN6hipcub20BlockReduceAlgorithmE2EEfLj256ELj1ELj100EEvPKT0_PS4_
; %bb.0:
	s_clause 0x1
	s_load_b32 s5, s[0:1], 0x1c
	s_load_b128 s[0:3], s[0:1], 0x0
	s_mov_b32 s4, s15
	v_mov_b32_e32 v3, 0x7c
	s_waitcnt lgkmcnt(0)
	s_and_b32 s5, s5, 0xffff
	s_delay_alu instid0(SALU_CYCLE_1) | instskip(SKIP_1) | instid1(VALU_DEP_1)
	v_mad_u64_u32 v[1:2], null, s4, s5, v[0:1]
	v_mov_b32_e32 v2, 0
	v_lshlrev_b64 v[1:2], 2, v[1:2]
	s_delay_alu instid0(VALU_DEP_1) | instskip(NEXT) | instid1(VALU_DEP_2)
	v_add_co_u32 v1, vcc_lo, s0, v1
	v_add_co_ci_u32_e32 v2, vcc_lo, s1, v2, vcc_lo
	s_movk_i32 s0, 0x64
	global_load_b32 v1, v[1:2], off
	v_lshlrev_b32_e32 v2, 2, v0
	s_set_inst_prefetch_distance 0x1
	.p2align	6
.LBB182_1:                              ; =>This Inner Loop Header: Depth=1
	s_waitcnt vmcnt(0) lgkmcnt(0)
	s_barrier
	buffer_gl0_inv
	ds_load_2addr_b32 v[4:5], v2 offset0:32 offset1:64
	ds_load_2addr_b32 v[6:7], v2 offset0:96 offset1:128
	;; [unrolled: 1-line block ×3, first 2 shown]
	s_add_i32 s0, s0, -1
	s_delay_alu instid0(SALU_CYCLE_1)
	s_cmp_eq_u32 s0, 0
	s_waitcnt lgkmcnt(2)
	v_add_f32_e32 v1, v1, v4
	ds_load_b32 v4, v2 offset:896
	v_add_f32_e32 v1, v1, v5
	s_waitcnt lgkmcnt(2)
	s_delay_alu instid0(VALU_DEP_1) | instskip(NEXT) | instid1(VALU_DEP_1)
	v_add_f32_e32 v1, v1, v6
	v_add_f32_e32 v1, v1, v7
	s_waitcnt lgkmcnt(1)
	s_delay_alu instid0(VALU_DEP_1) | instskip(NEXT) | instid1(VALU_DEP_1)
	v_add_f32_e32 v1, v1, v8
	;; [unrolled: 4-line block ×3, first 2 shown]
	v_mov_b32_dpp v4, v1 quad_perm:[1,0,3,2] row_mask:0xf bank_mask:0xf
	s_delay_alu instid0(VALU_DEP_1) | instskip(NEXT) | instid1(VALU_DEP_1)
	v_add_f32_e32 v1, v1, v4
	v_mov_b32_dpp v4, v1 quad_perm:[2,3,0,1] row_mask:0xf bank_mask:0xf
	s_delay_alu instid0(VALU_DEP_1) | instskip(NEXT) | instid1(VALU_DEP_1)
	v_add_f32_e32 v1, v1, v4
	v_mov_b32_dpp v4, v1 row_ror:4 row_mask:0xf bank_mask:0xf
	s_delay_alu instid0(VALU_DEP_1) | instskip(NEXT) | instid1(VALU_DEP_1)
	v_add_f32_e32 v1, v1, v4
	v_mov_b32_dpp v4, v1 row_ror:8 row_mask:0xf bank_mask:0xf
	s_delay_alu instid0(VALU_DEP_1)
	v_add_f32_e32 v1, v1, v4
	ds_swizzle_b32 v4, v1 offset:swizzle(BROADCAST,32,15)
	s_waitcnt lgkmcnt(0)
	v_add_f32_e32 v1, v1, v4
	ds_bpermute_b32 v1, v3, v1
	s_cbranch_scc0 .LBB182_1
; %bb.2:
	s_set_inst_prefetch_distance 0x2
	s_mov_b32 s5, 0
	s_mov_b32 s0, exec_lo
	v_cmpx_eq_u32_e32 0, v0
	s_cbranch_execz .LBB182_4
; %bb.3:
	s_lshl_b64 s[0:1], s[4:5], 2
	v_mov_b32_e32 v0, 0
	s_add_u32 s0, s2, s0
	s_addc_u32 s1, s3, s1
	s_waitcnt lgkmcnt(0)
	global_store_b32 v0, v1, s[0:1]
.LBB182_4:
	s_nop 0
	s_sendmsg sendmsg(MSG_DEALLOC_VGPRS)
	s_endpgm
	.section	.rodata,"a",@progbits
	.p2align	6, 0x0
	.amdhsa_kernel _Z6kernelI6reduceILN6hipcub20BlockReduceAlgorithmE2EEfLj256ELj1ELj100EEvPKT0_PS4_
		.amdhsa_group_segment_fixed_size 1024
		.amdhsa_private_segment_fixed_size 0
		.amdhsa_kernarg_size 272
		.amdhsa_user_sgpr_count 15
		.amdhsa_user_sgpr_dispatch_ptr 0
		.amdhsa_user_sgpr_queue_ptr 0
		.amdhsa_user_sgpr_kernarg_segment_ptr 1
		.amdhsa_user_sgpr_dispatch_id 0
		.amdhsa_user_sgpr_private_segment_size 0
		.amdhsa_wavefront_size32 1
		.amdhsa_uses_dynamic_stack 0
		.amdhsa_enable_private_segment 0
		.amdhsa_system_sgpr_workgroup_id_x 1
		.amdhsa_system_sgpr_workgroup_id_y 0
		.amdhsa_system_sgpr_workgroup_id_z 0
		.amdhsa_system_sgpr_workgroup_info 0
		.amdhsa_system_vgpr_workitem_id 0
		.amdhsa_next_free_vgpr 10
		.amdhsa_next_free_sgpr 16
		.amdhsa_reserve_vcc 1
		.amdhsa_float_round_mode_32 0
		.amdhsa_float_round_mode_16_64 0
		.amdhsa_float_denorm_mode_32 3
		.amdhsa_float_denorm_mode_16_64 3
		.amdhsa_dx10_clamp 1
		.amdhsa_ieee_mode 1
		.amdhsa_fp16_overflow 0
		.amdhsa_workgroup_processor_mode 1
		.amdhsa_memory_ordered 1
		.amdhsa_forward_progress 0
		.amdhsa_shared_vgpr_count 0
		.amdhsa_exception_fp_ieee_invalid_op 0
		.amdhsa_exception_fp_denorm_src 0
		.amdhsa_exception_fp_ieee_div_zero 0
		.amdhsa_exception_fp_ieee_overflow 0
		.amdhsa_exception_fp_ieee_underflow 0
		.amdhsa_exception_fp_ieee_inexact 0
		.amdhsa_exception_int_div_zero 0
	.end_amdhsa_kernel
	.section	.text._Z6kernelI6reduceILN6hipcub20BlockReduceAlgorithmE2EEfLj256ELj1ELj100EEvPKT0_PS4_,"axG",@progbits,_Z6kernelI6reduceILN6hipcub20BlockReduceAlgorithmE2EEfLj256ELj1ELj100EEvPKT0_PS4_,comdat
.Lfunc_end182:
	.size	_Z6kernelI6reduceILN6hipcub20BlockReduceAlgorithmE2EEfLj256ELj1ELj100EEvPKT0_PS4_, .Lfunc_end182-_Z6kernelI6reduceILN6hipcub20BlockReduceAlgorithmE2EEfLj256ELj1ELj100EEvPKT0_PS4_
                                        ; -- End function
	.section	.AMDGPU.csdata,"",@progbits
; Kernel info:
; codeLenInByte = 372
; NumSgprs: 18
; NumVgprs: 10
; ScratchSize: 0
; MemoryBound: 0
; FloatMode: 240
; IeeeMode: 1
; LDSByteSize: 1024 bytes/workgroup (compile time only)
; SGPRBlocks: 2
; VGPRBlocks: 1
; NumSGPRsForWavesPerEU: 18
; NumVGPRsForWavesPerEU: 10
; Occupancy: 16
; WaveLimiterHint : 0
; COMPUTE_PGM_RSRC2:SCRATCH_EN: 0
; COMPUTE_PGM_RSRC2:USER_SGPR: 15
; COMPUTE_PGM_RSRC2:TRAP_HANDLER: 0
; COMPUTE_PGM_RSRC2:TGID_X_EN: 1
; COMPUTE_PGM_RSRC2:TGID_Y_EN: 0
; COMPUTE_PGM_RSRC2:TGID_Z_EN: 0
; COMPUTE_PGM_RSRC2:TIDIG_COMP_CNT: 0
	.section	.text._Z6kernelI6reduceILN6hipcub20BlockReduceAlgorithmE2EEfLj256ELj2ELj100EEvPKT0_PS4_,"axG",@progbits,_Z6kernelI6reduceILN6hipcub20BlockReduceAlgorithmE2EEfLj256ELj2ELj100EEvPKT0_PS4_,comdat
	.protected	_Z6kernelI6reduceILN6hipcub20BlockReduceAlgorithmE2EEfLj256ELj2ELj100EEvPKT0_PS4_ ; -- Begin function _Z6kernelI6reduceILN6hipcub20BlockReduceAlgorithmE2EEfLj256ELj2ELj100EEvPKT0_PS4_
	.globl	_Z6kernelI6reduceILN6hipcub20BlockReduceAlgorithmE2EEfLj256ELj2ELj100EEvPKT0_PS4_
	.p2align	8
	.type	_Z6kernelI6reduceILN6hipcub20BlockReduceAlgorithmE2EEfLj256ELj2ELj100EEvPKT0_PS4_,@function
_Z6kernelI6reduceILN6hipcub20BlockReduceAlgorithmE2EEfLj256ELj2ELj100EEvPKT0_PS4_: ; @_Z6kernelI6reduceILN6hipcub20BlockReduceAlgorithmE2EEfLj256ELj2ELj100EEvPKT0_PS4_
; %bb.0:
	s_clause 0x1
	s_load_b32 s5, s[0:1], 0x1c
	s_load_b128 s[0:3], s[0:1], 0x0
	v_dual_mov_b32 v2, 0 :: v_dual_lshlrev_b32 v3, 2, v0
	v_mov_b32_e32 v4, 0x7c
	s_mov_b32 s4, s15
	s_waitcnt lgkmcnt(0)
	s_and_b32 s5, s5, 0xffff
	s_delay_alu instid0(SALU_CYCLE_1) | instskip(NEXT) | instid1(SALU_CYCLE_1)
	s_mul_i32 s5, s15, s5
	v_add_lshl_u32 v1, s5, v0, 1
	s_delay_alu instid0(VALU_DEP_1) | instskip(NEXT) | instid1(VALU_DEP_1)
	v_lshlrev_b64 v[1:2], 2, v[1:2]
	v_add_co_u32 v1, vcc_lo, s0, v1
	s_delay_alu instid0(VALU_DEP_2)
	v_add_co_ci_u32_e32 v2, vcc_lo, s1, v2, vcc_lo
	s_movk_i32 s0, 0x64
	global_load_b64 v[1:2], v[1:2], off
	s_set_inst_prefetch_distance 0x1
	.p2align	6
.LBB183_1:                              ; =>This Inner Loop Header: Depth=1
	s_waitcnt vmcnt(0) lgkmcnt(0)
	s_barrier
	buffer_gl0_inv
	ds_load_2addr_b32 v[5:6], v3 offset0:32 offset1:64
	ds_load_2addr_b32 v[7:8], v3 offset0:96 offset1:128
	v_add_f32_e32 v1, v1, v2
	ds_load_2addr_b32 v[9:10], v3 offset0:160 offset1:192
	s_add_i32 s0, s0, -1
	s_delay_alu instid0(SALU_CYCLE_1)
	s_cmp_eq_u32 s0, 0
	s_waitcnt lgkmcnt(2)
	v_add_f32_e32 v1, v1, v5
	ds_load_b32 v5, v3 offset:896
	v_add_f32_e32 v1, v1, v6
	s_waitcnt lgkmcnt(2)
	s_delay_alu instid0(VALU_DEP_1) | instskip(NEXT) | instid1(VALU_DEP_1)
	v_add_f32_e32 v1, v1, v7
	v_add_f32_e32 v1, v1, v8
	s_waitcnt lgkmcnt(1)
	s_delay_alu instid0(VALU_DEP_1) | instskip(NEXT) | instid1(VALU_DEP_1)
	v_add_f32_e32 v1, v1, v9
	;; [unrolled: 4-line block ×3, first 2 shown]
	v_mov_b32_dpp v5, v1 quad_perm:[1,0,3,2] row_mask:0xf bank_mask:0xf
	s_delay_alu instid0(VALU_DEP_1) | instskip(NEXT) | instid1(VALU_DEP_1)
	v_add_f32_e32 v1, v1, v5
	v_mov_b32_dpp v5, v1 quad_perm:[2,3,0,1] row_mask:0xf bank_mask:0xf
	s_delay_alu instid0(VALU_DEP_1) | instskip(NEXT) | instid1(VALU_DEP_1)
	v_add_f32_e32 v1, v1, v5
	v_mov_b32_dpp v5, v1 row_ror:4 row_mask:0xf bank_mask:0xf
	s_delay_alu instid0(VALU_DEP_1) | instskip(NEXT) | instid1(VALU_DEP_1)
	v_add_f32_e32 v1, v1, v5
	v_mov_b32_dpp v5, v1 row_ror:8 row_mask:0xf bank_mask:0xf
	s_delay_alu instid0(VALU_DEP_1)
	v_add_f32_e32 v1, v1, v5
	ds_swizzle_b32 v5, v1 offset:swizzle(BROADCAST,32,15)
	s_waitcnt lgkmcnt(0)
	v_add_f32_e32 v1, v1, v5
	ds_bpermute_b32 v1, v4, v1
	s_cbranch_scc0 .LBB183_1
; %bb.2:
	s_set_inst_prefetch_distance 0x2
	s_mov_b32 s5, 0
	s_mov_b32 s0, exec_lo
	v_cmpx_eq_u32_e32 0, v0
	s_cbranch_execz .LBB183_4
; %bb.3:
	s_lshl_b64 s[0:1], s[4:5], 2
	v_mov_b32_e32 v0, 0
	s_add_u32 s0, s2, s0
	s_addc_u32 s1, s3, s1
	s_waitcnt lgkmcnt(0)
	global_store_b32 v0, v1, s[0:1]
.LBB183_4:
	s_nop 0
	s_sendmsg sendmsg(MSG_DEALLOC_VGPRS)
	s_endpgm
	.section	.rodata,"a",@progbits
	.p2align	6, 0x0
	.amdhsa_kernel _Z6kernelI6reduceILN6hipcub20BlockReduceAlgorithmE2EEfLj256ELj2ELj100EEvPKT0_PS4_
		.amdhsa_group_segment_fixed_size 1024
		.amdhsa_private_segment_fixed_size 0
		.amdhsa_kernarg_size 272
		.amdhsa_user_sgpr_count 15
		.amdhsa_user_sgpr_dispatch_ptr 0
		.amdhsa_user_sgpr_queue_ptr 0
		.amdhsa_user_sgpr_kernarg_segment_ptr 1
		.amdhsa_user_sgpr_dispatch_id 0
		.amdhsa_user_sgpr_private_segment_size 0
		.amdhsa_wavefront_size32 1
		.amdhsa_uses_dynamic_stack 0
		.amdhsa_enable_private_segment 0
		.amdhsa_system_sgpr_workgroup_id_x 1
		.amdhsa_system_sgpr_workgroup_id_y 0
		.amdhsa_system_sgpr_workgroup_id_z 0
		.amdhsa_system_sgpr_workgroup_info 0
		.amdhsa_system_vgpr_workitem_id 0
		.amdhsa_next_free_vgpr 11
		.amdhsa_next_free_sgpr 16
		.amdhsa_reserve_vcc 1
		.amdhsa_float_round_mode_32 0
		.amdhsa_float_round_mode_16_64 0
		.amdhsa_float_denorm_mode_32 3
		.amdhsa_float_denorm_mode_16_64 3
		.amdhsa_dx10_clamp 1
		.amdhsa_ieee_mode 1
		.amdhsa_fp16_overflow 0
		.amdhsa_workgroup_processor_mode 1
		.amdhsa_memory_ordered 1
		.amdhsa_forward_progress 0
		.amdhsa_shared_vgpr_count 0
		.amdhsa_exception_fp_ieee_invalid_op 0
		.amdhsa_exception_fp_denorm_src 0
		.amdhsa_exception_fp_ieee_div_zero 0
		.amdhsa_exception_fp_ieee_overflow 0
		.amdhsa_exception_fp_ieee_underflow 0
		.amdhsa_exception_fp_ieee_inexact 0
		.amdhsa_exception_int_div_zero 0
	.end_amdhsa_kernel
	.section	.text._Z6kernelI6reduceILN6hipcub20BlockReduceAlgorithmE2EEfLj256ELj2ELj100EEvPKT0_PS4_,"axG",@progbits,_Z6kernelI6reduceILN6hipcub20BlockReduceAlgorithmE2EEfLj256ELj2ELj100EEvPKT0_PS4_,comdat
.Lfunc_end183:
	.size	_Z6kernelI6reduceILN6hipcub20BlockReduceAlgorithmE2EEfLj256ELj2ELj100EEvPKT0_PS4_, .Lfunc_end183-_Z6kernelI6reduceILN6hipcub20BlockReduceAlgorithmE2EEfLj256ELj2ELj100EEvPKT0_PS4_
                                        ; -- End function
	.section	.AMDGPU.csdata,"",@progbits
; Kernel info:
; codeLenInByte = 384
; NumSgprs: 18
; NumVgprs: 11
; ScratchSize: 0
; MemoryBound: 0
; FloatMode: 240
; IeeeMode: 1
; LDSByteSize: 1024 bytes/workgroup (compile time only)
; SGPRBlocks: 2
; VGPRBlocks: 1
; NumSGPRsForWavesPerEU: 18
; NumVGPRsForWavesPerEU: 11
; Occupancy: 16
; WaveLimiterHint : 0
; COMPUTE_PGM_RSRC2:SCRATCH_EN: 0
; COMPUTE_PGM_RSRC2:USER_SGPR: 15
; COMPUTE_PGM_RSRC2:TRAP_HANDLER: 0
; COMPUTE_PGM_RSRC2:TGID_X_EN: 1
; COMPUTE_PGM_RSRC2:TGID_Y_EN: 0
; COMPUTE_PGM_RSRC2:TGID_Z_EN: 0
; COMPUTE_PGM_RSRC2:TIDIG_COMP_CNT: 0
	.section	.text._Z6kernelI6reduceILN6hipcub20BlockReduceAlgorithmE2EEfLj256ELj3ELj100EEvPKT0_PS4_,"axG",@progbits,_Z6kernelI6reduceILN6hipcub20BlockReduceAlgorithmE2EEfLj256ELj3ELj100EEvPKT0_PS4_,comdat
	.protected	_Z6kernelI6reduceILN6hipcub20BlockReduceAlgorithmE2EEfLj256ELj3ELj100EEvPKT0_PS4_ ; -- Begin function _Z6kernelI6reduceILN6hipcub20BlockReduceAlgorithmE2EEfLj256ELj3ELj100EEvPKT0_PS4_
	.globl	_Z6kernelI6reduceILN6hipcub20BlockReduceAlgorithmE2EEfLj256ELj3ELj100EEvPKT0_PS4_
	.p2align	8
	.type	_Z6kernelI6reduceILN6hipcub20BlockReduceAlgorithmE2EEfLj256ELj3ELj100EEvPKT0_PS4_,@function
_Z6kernelI6reduceILN6hipcub20BlockReduceAlgorithmE2EEfLj256ELj3ELj100EEvPKT0_PS4_: ; @_Z6kernelI6reduceILN6hipcub20BlockReduceAlgorithmE2EEfLj256ELj3ELj100EEvPKT0_PS4_
; %bb.0:
	s_load_b32 s2, s[0:1], 0x1c
	s_mov_b32 s4, s15
	s_waitcnt lgkmcnt(0)
	s_and_b32 s2, s2, 0xffff
	s_delay_alu instid0(SALU_CYCLE_1) | instskip(SKIP_1) | instid1(VALU_DEP_1)
	v_mad_u64_u32 v[1:2], null, s4, s2, v[0:1]
	s_load_b128 s[0:3], s[0:1], 0x0
	v_lshl_add_u32 v1, v1, 1, v1
	s_delay_alu instid0(VALU_DEP_1) | instskip(NEXT) | instid1(VALU_DEP_1)
	v_dual_mov_b32 v2, 0 :: v_dual_add_nc_u32 v3, 1, v1
	v_mov_b32_e32 v4, v2
	v_lshlrev_b64 v[5:6], 2, v[1:2]
	v_add_nc_u32_e32 v1, 2, v1
	s_delay_alu instid0(VALU_DEP_3) | instskip(NEXT) | instid1(VALU_DEP_2)
	v_lshlrev_b64 v[3:4], 2, v[3:4]
	v_lshlrev_b64 v[1:2], 2, v[1:2]
	s_waitcnt lgkmcnt(0)
	s_delay_alu instid0(VALU_DEP_4) | instskip(SKIP_1) | instid1(VALU_DEP_4)
	v_add_co_u32 v5, vcc_lo, s0, v5
	v_add_co_ci_u32_e32 v6, vcc_lo, s1, v6, vcc_lo
	v_add_co_u32 v3, vcc_lo, s0, v3
	v_add_co_ci_u32_e32 v4, vcc_lo, s1, v4, vcc_lo
	;; [unrolled: 2-line block ×3, first 2 shown]
	s_clause 0x2
	global_load_b32 v5, v[5:6], off
	global_load_b32 v1, v[3:4], off
	;; [unrolled: 1-line block ×3, first 2 shown]
	v_dual_mov_b32 v4, 0x7c :: v_dual_lshlrev_b32 v3, 2, v0
	s_movk_i32 s0, 0x64
	s_set_inst_prefetch_distance 0x1
	.p2align	6
.LBB184_1:                              ; =>This Inner Loop Header: Depth=1
	s_waitcnt vmcnt(0) lgkmcnt(0)
	s_barrier
	buffer_gl0_inv
	ds_load_2addr_b32 v[6:7], v3 offset0:32 offset1:64
	v_add_f32_e32 v5, v5, v1
	ds_load_2addr_b32 v[8:9], v3 offset0:96 offset1:128
	ds_load_2addr_b32 v[10:11], v3 offset0:160 offset1:192
	s_add_i32 s0, s0, -1
	v_add_f32_e32 v5, v2, v5
	s_cmp_eq_u32 s0, 0
	s_waitcnt lgkmcnt(2)
	s_delay_alu instid0(VALU_DEP_1) | instskip(SKIP_3) | instid1(VALU_DEP_1)
	v_add_f32_e32 v5, v5, v6
	ds_load_b32 v6, v3 offset:896
	v_add_f32_e32 v5, v5, v7
	s_waitcnt lgkmcnt(2)
	v_add_f32_e32 v5, v5, v8
	s_delay_alu instid0(VALU_DEP_1) | instskip(SKIP_1) | instid1(VALU_DEP_1)
	v_add_f32_e32 v5, v5, v9
	s_waitcnt lgkmcnt(1)
	v_add_f32_e32 v5, v5, v10
	s_delay_alu instid0(VALU_DEP_1) | instskip(SKIP_1) | instid1(VALU_DEP_1)
	v_add_f32_e32 v5, v5, v11
	s_waitcnt lgkmcnt(0)
	v_add_f32_e32 v5, v5, v6
	s_delay_alu instid0(VALU_DEP_1) | instskip(NEXT) | instid1(VALU_DEP_1)
	v_mov_b32_dpp v6, v5 quad_perm:[1,0,3,2] row_mask:0xf bank_mask:0xf
	v_add_f32_e32 v5, v5, v6
	s_delay_alu instid0(VALU_DEP_1) | instskip(NEXT) | instid1(VALU_DEP_1)
	v_mov_b32_dpp v6, v5 quad_perm:[2,3,0,1] row_mask:0xf bank_mask:0xf
	v_add_f32_e32 v5, v5, v6
	s_delay_alu instid0(VALU_DEP_1) | instskip(NEXT) | instid1(VALU_DEP_1)
	v_mov_b32_dpp v6, v5 row_ror:4 row_mask:0xf bank_mask:0xf
	v_add_f32_e32 v5, v5, v6
	s_delay_alu instid0(VALU_DEP_1) | instskip(NEXT) | instid1(VALU_DEP_1)
	v_mov_b32_dpp v6, v5 row_ror:8 row_mask:0xf bank_mask:0xf
	v_add_f32_e32 v5, v5, v6
	ds_swizzle_b32 v6, v5 offset:swizzle(BROADCAST,32,15)
	s_waitcnt lgkmcnt(0)
	v_add_f32_e32 v5, v5, v6
	ds_bpermute_b32 v5, v4, v5
	s_cbranch_scc0 .LBB184_1
; %bb.2:
	s_set_inst_prefetch_distance 0x2
	s_mov_b32 s5, 0
	s_mov_b32 s0, exec_lo
	v_cmpx_eq_u32_e32 0, v0
	s_cbranch_execz .LBB184_4
; %bb.3:
	s_lshl_b64 s[0:1], s[4:5], 2
	v_mov_b32_e32 v0, 0
	s_add_u32 s0, s2, s0
	s_addc_u32 s1, s3, s1
	s_waitcnt lgkmcnt(0)
	global_store_b32 v0, v5, s[0:1]
.LBB184_4:
	s_nop 0
	s_sendmsg sendmsg(MSG_DEALLOC_VGPRS)
	s_endpgm
	.section	.rodata,"a",@progbits
	.p2align	6, 0x0
	.amdhsa_kernel _Z6kernelI6reduceILN6hipcub20BlockReduceAlgorithmE2EEfLj256ELj3ELj100EEvPKT0_PS4_
		.amdhsa_group_segment_fixed_size 1024
		.amdhsa_private_segment_fixed_size 0
		.amdhsa_kernarg_size 272
		.amdhsa_user_sgpr_count 15
		.amdhsa_user_sgpr_dispatch_ptr 0
		.amdhsa_user_sgpr_queue_ptr 0
		.amdhsa_user_sgpr_kernarg_segment_ptr 1
		.amdhsa_user_sgpr_dispatch_id 0
		.amdhsa_user_sgpr_private_segment_size 0
		.amdhsa_wavefront_size32 1
		.amdhsa_uses_dynamic_stack 0
		.amdhsa_enable_private_segment 0
		.amdhsa_system_sgpr_workgroup_id_x 1
		.amdhsa_system_sgpr_workgroup_id_y 0
		.amdhsa_system_sgpr_workgroup_id_z 0
		.amdhsa_system_sgpr_workgroup_info 0
		.amdhsa_system_vgpr_workitem_id 0
		.amdhsa_next_free_vgpr 12
		.amdhsa_next_free_sgpr 16
		.amdhsa_reserve_vcc 1
		.amdhsa_float_round_mode_32 0
		.amdhsa_float_round_mode_16_64 0
		.amdhsa_float_denorm_mode_32 3
		.amdhsa_float_denorm_mode_16_64 3
		.amdhsa_dx10_clamp 1
		.amdhsa_ieee_mode 1
		.amdhsa_fp16_overflow 0
		.amdhsa_workgroup_processor_mode 1
		.amdhsa_memory_ordered 1
		.amdhsa_forward_progress 0
		.amdhsa_shared_vgpr_count 0
		.amdhsa_exception_fp_ieee_invalid_op 0
		.amdhsa_exception_fp_denorm_src 0
		.amdhsa_exception_fp_ieee_div_zero 0
		.amdhsa_exception_fp_ieee_overflow 0
		.amdhsa_exception_fp_ieee_underflow 0
		.amdhsa_exception_fp_ieee_inexact 0
		.amdhsa_exception_int_div_zero 0
	.end_amdhsa_kernel
	.section	.text._Z6kernelI6reduceILN6hipcub20BlockReduceAlgorithmE2EEfLj256ELj3ELj100EEvPKT0_PS4_,"axG",@progbits,_Z6kernelI6reduceILN6hipcub20BlockReduceAlgorithmE2EEfLj256ELj3ELj100EEvPKT0_PS4_,comdat
.Lfunc_end184:
	.size	_Z6kernelI6reduceILN6hipcub20BlockReduceAlgorithmE2EEfLj256ELj3ELj100EEvPKT0_PS4_, .Lfunc_end184-_Z6kernelI6reduceILN6hipcub20BlockReduceAlgorithmE2EEfLj256ELj3ELj100EEvPKT0_PS4_
                                        ; -- End function
	.section	.AMDGPU.csdata,"",@progbits
; Kernel info:
; codeLenInByte = 464
; NumSgprs: 18
; NumVgprs: 12
; ScratchSize: 0
; MemoryBound: 0
; FloatMode: 240
; IeeeMode: 1
; LDSByteSize: 1024 bytes/workgroup (compile time only)
; SGPRBlocks: 2
; VGPRBlocks: 1
; NumSGPRsForWavesPerEU: 18
; NumVGPRsForWavesPerEU: 12
; Occupancy: 16
; WaveLimiterHint : 0
; COMPUTE_PGM_RSRC2:SCRATCH_EN: 0
; COMPUTE_PGM_RSRC2:USER_SGPR: 15
; COMPUTE_PGM_RSRC2:TRAP_HANDLER: 0
; COMPUTE_PGM_RSRC2:TGID_X_EN: 1
; COMPUTE_PGM_RSRC2:TGID_Y_EN: 0
; COMPUTE_PGM_RSRC2:TGID_Z_EN: 0
; COMPUTE_PGM_RSRC2:TIDIG_COMP_CNT: 0
	.section	.text._Z6kernelI6reduceILN6hipcub20BlockReduceAlgorithmE2EEfLj256ELj4ELj100EEvPKT0_PS4_,"axG",@progbits,_Z6kernelI6reduceILN6hipcub20BlockReduceAlgorithmE2EEfLj256ELj4ELj100EEvPKT0_PS4_,comdat
	.protected	_Z6kernelI6reduceILN6hipcub20BlockReduceAlgorithmE2EEfLj256ELj4ELj100EEvPKT0_PS4_ ; -- Begin function _Z6kernelI6reduceILN6hipcub20BlockReduceAlgorithmE2EEfLj256ELj4ELj100EEvPKT0_PS4_
	.globl	_Z6kernelI6reduceILN6hipcub20BlockReduceAlgorithmE2EEfLj256ELj4ELj100EEvPKT0_PS4_
	.p2align	8
	.type	_Z6kernelI6reduceILN6hipcub20BlockReduceAlgorithmE2EEfLj256ELj4ELj100EEvPKT0_PS4_,@function
_Z6kernelI6reduceILN6hipcub20BlockReduceAlgorithmE2EEfLj256ELj4ELj100EEvPKT0_PS4_: ; @_Z6kernelI6reduceILN6hipcub20BlockReduceAlgorithmE2EEfLj256ELj4ELj100EEvPKT0_PS4_
; %bb.0:
	s_clause 0x1
	s_load_b32 s5, s[0:1], 0x1c
	s_load_b128 s[0:3], s[0:1], 0x0
	v_dual_mov_b32 v2, 0 :: v_dual_lshlrev_b32 v5, 2, v0
	v_mov_b32_e32 v6, 0x7c
	s_mov_b32 s4, s15
	s_waitcnt lgkmcnt(0)
	s_and_b32 s5, s5, 0xffff
	s_delay_alu instid0(SALU_CYCLE_1) | instskip(NEXT) | instid1(SALU_CYCLE_1)
	s_mul_i32 s5, s15, s5
	v_add_lshl_u32 v1, s5, v0, 2
	s_delay_alu instid0(VALU_DEP_1) | instskip(NEXT) | instid1(VALU_DEP_1)
	v_lshlrev_b64 v[1:2], 2, v[1:2]
	v_add_co_u32 v1, vcc_lo, s0, v1
	s_delay_alu instid0(VALU_DEP_2)
	v_add_co_ci_u32_e32 v2, vcc_lo, s1, v2, vcc_lo
	s_movk_i32 s0, 0x64
	global_load_b128 v[1:4], v[1:2], off
	s_set_inst_prefetch_distance 0x1
	.p2align	6
.LBB185_1:                              ; =>This Inner Loop Header: Depth=1
	s_waitcnt vmcnt(0) lgkmcnt(0)
	s_barrier
	buffer_gl0_inv
	ds_load_2addr_b32 v[7:8], v5 offset0:32 offset1:64
	v_add_f32_e32 v1, v1, v2
	ds_load_2addr_b32 v[9:10], v5 offset0:96 offset1:128
	ds_load_2addr_b32 v[11:12], v5 offset0:160 offset1:192
	s_add_i32 s0, s0, -1
	v_add_f32_e32 v1, v3, v1
	s_cmp_eq_u32 s0, 0
	s_delay_alu instid0(VALU_DEP_1) | instskip(SKIP_1) | instid1(VALU_DEP_1)
	v_add_f32_e32 v1, v4, v1
	s_waitcnt lgkmcnt(2)
	v_add_f32_e32 v1, v1, v7
	ds_load_b32 v7, v5 offset:896
	v_add_f32_e32 v1, v1, v8
	s_waitcnt lgkmcnt(2)
	s_delay_alu instid0(VALU_DEP_1) | instskip(NEXT) | instid1(VALU_DEP_1)
	v_add_f32_e32 v1, v1, v9
	v_add_f32_e32 v1, v1, v10
	s_waitcnt lgkmcnt(1)
	s_delay_alu instid0(VALU_DEP_1) | instskip(NEXT) | instid1(VALU_DEP_1)
	v_add_f32_e32 v1, v1, v11
	;; [unrolled: 4-line block ×3, first 2 shown]
	v_mov_b32_dpp v7, v1 quad_perm:[1,0,3,2] row_mask:0xf bank_mask:0xf
	s_delay_alu instid0(VALU_DEP_1) | instskip(NEXT) | instid1(VALU_DEP_1)
	v_add_f32_e32 v1, v1, v7
	v_mov_b32_dpp v7, v1 quad_perm:[2,3,0,1] row_mask:0xf bank_mask:0xf
	s_delay_alu instid0(VALU_DEP_1) | instskip(NEXT) | instid1(VALU_DEP_1)
	v_add_f32_e32 v1, v1, v7
	v_mov_b32_dpp v7, v1 row_ror:4 row_mask:0xf bank_mask:0xf
	s_delay_alu instid0(VALU_DEP_1) | instskip(NEXT) | instid1(VALU_DEP_1)
	v_add_f32_e32 v1, v1, v7
	v_mov_b32_dpp v7, v1 row_ror:8 row_mask:0xf bank_mask:0xf
	s_delay_alu instid0(VALU_DEP_1)
	v_add_f32_e32 v1, v1, v7
	ds_swizzle_b32 v7, v1 offset:swizzle(BROADCAST,32,15)
	s_waitcnt lgkmcnt(0)
	v_add_f32_e32 v1, v1, v7
	ds_bpermute_b32 v1, v6, v1
	s_cbranch_scc0 .LBB185_1
; %bb.2:
	s_set_inst_prefetch_distance 0x2
	s_mov_b32 s5, 0
	s_mov_b32 s0, exec_lo
	v_cmpx_eq_u32_e32 0, v0
	s_cbranch_execz .LBB185_4
; %bb.3:
	s_lshl_b64 s[0:1], s[4:5], 2
	v_mov_b32_e32 v0, 0
	s_add_u32 s0, s2, s0
	s_addc_u32 s1, s3, s1
	s_waitcnt lgkmcnt(0)
	global_store_b32 v0, v1, s[0:1]
.LBB185_4:
	s_nop 0
	s_sendmsg sendmsg(MSG_DEALLOC_VGPRS)
	s_endpgm
	.section	.rodata,"a",@progbits
	.p2align	6, 0x0
	.amdhsa_kernel _Z6kernelI6reduceILN6hipcub20BlockReduceAlgorithmE2EEfLj256ELj4ELj100EEvPKT0_PS4_
		.amdhsa_group_segment_fixed_size 1024
		.amdhsa_private_segment_fixed_size 0
		.amdhsa_kernarg_size 272
		.amdhsa_user_sgpr_count 15
		.amdhsa_user_sgpr_dispatch_ptr 0
		.amdhsa_user_sgpr_queue_ptr 0
		.amdhsa_user_sgpr_kernarg_segment_ptr 1
		.amdhsa_user_sgpr_dispatch_id 0
		.amdhsa_user_sgpr_private_segment_size 0
		.amdhsa_wavefront_size32 1
		.amdhsa_uses_dynamic_stack 0
		.amdhsa_enable_private_segment 0
		.amdhsa_system_sgpr_workgroup_id_x 1
		.amdhsa_system_sgpr_workgroup_id_y 0
		.amdhsa_system_sgpr_workgroup_id_z 0
		.amdhsa_system_sgpr_workgroup_info 0
		.amdhsa_system_vgpr_workitem_id 0
		.amdhsa_next_free_vgpr 13
		.amdhsa_next_free_sgpr 16
		.amdhsa_reserve_vcc 1
		.amdhsa_float_round_mode_32 0
		.amdhsa_float_round_mode_16_64 0
		.amdhsa_float_denorm_mode_32 3
		.amdhsa_float_denorm_mode_16_64 3
		.amdhsa_dx10_clamp 1
		.amdhsa_ieee_mode 1
		.amdhsa_fp16_overflow 0
		.amdhsa_workgroup_processor_mode 1
		.amdhsa_memory_ordered 1
		.amdhsa_forward_progress 0
		.amdhsa_shared_vgpr_count 0
		.amdhsa_exception_fp_ieee_invalid_op 0
		.amdhsa_exception_fp_denorm_src 0
		.amdhsa_exception_fp_ieee_div_zero 0
		.amdhsa_exception_fp_ieee_overflow 0
		.amdhsa_exception_fp_ieee_underflow 0
		.amdhsa_exception_fp_ieee_inexact 0
		.amdhsa_exception_int_div_zero 0
	.end_amdhsa_kernel
	.section	.text._Z6kernelI6reduceILN6hipcub20BlockReduceAlgorithmE2EEfLj256ELj4ELj100EEvPKT0_PS4_,"axG",@progbits,_Z6kernelI6reduceILN6hipcub20BlockReduceAlgorithmE2EEfLj256ELj4ELj100EEvPKT0_PS4_,comdat
.Lfunc_end185:
	.size	_Z6kernelI6reduceILN6hipcub20BlockReduceAlgorithmE2EEfLj256ELj4ELj100EEvPKT0_PS4_, .Lfunc_end185-_Z6kernelI6reduceILN6hipcub20BlockReduceAlgorithmE2EEfLj256ELj4ELj100EEvPKT0_PS4_
                                        ; -- End function
	.section	.AMDGPU.csdata,"",@progbits
; Kernel info:
; codeLenInByte = 392
; NumSgprs: 18
; NumVgprs: 13
; ScratchSize: 0
; MemoryBound: 0
; FloatMode: 240
; IeeeMode: 1
; LDSByteSize: 1024 bytes/workgroup (compile time only)
; SGPRBlocks: 2
; VGPRBlocks: 1
; NumSGPRsForWavesPerEU: 18
; NumVGPRsForWavesPerEU: 13
; Occupancy: 16
; WaveLimiterHint : 0
; COMPUTE_PGM_RSRC2:SCRATCH_EN: 0
; COMPUTE_PGM_RSRC2:USER_SGPR: 15
; COMPUTE_PGM_RSRC2:TRAP_HANDLER: 0
; COMPUTE_PGM_RSRC2:TGID_X_EN: 1
; COMPUTE_PGM_RSRC2:TGID_Y_EN: 0
; COMPUTE_PGM_RSRC2:TGID_Z_EN: 0
; COMPUTE_PGM_RSRC2:TIDIG_COMP_CNT: 0
	.section	.text._Z6kernelI6reduceILN6hipcub20BlockReduceAlgorithmE2EEfLj256ELj8ELj100EEvPKT0_PS4_,"axG",@progbits,_Z6kernelI6reduceILN6hipcub20BlockReduceAlgorithmE2EEfLj256ELj8ELj100EEvPKT0_PS4_,comdat
	.protected	_Z6kernelI6reduceILN6hipcub20BlockReduceAlgorithmE2EEfLj256ELj8ELj100EEvPKT0_PS4_ ; -- Begin function _Z6kernelI6reduceILN6hipcub20BlockReduceAlgorithmE2EEfLj256ELj8ELj100EEvPKT0_PS4_
	.globl	_Z6kernelI6reduceILN6hipcub20BlockReduceAlgorithmE2EEfLj256ELj8ELj100EEvPKT0_PS4_
	.p2align	8
	.type	_Z6kernelI6reduceILN6hipcub20BlockReduceAlgorithmE2EEfLj256ELj8ELj100EEvPKT0_PS4_,@function
_Z6kernelI6reduceILN6hipcub20BlockReduceAlgorithmE2EEfLj256ELj8ELj100EEvPKT0_PS4_: ; @_Z6kernelI6reduceILN6hipcub20BlockReduceAlgorithmE2EEfLj256ELj8ELj100EEvPKT0_PS4_
; %bb.0:
	s_clause 0x1
	s_load_b32 s5, s[0:1], 0x1c
	s_load_b128 s[0:3], s[0:1], 0x0
	v_dual_mov_b32 v2, 0 :: v_dual_lshlrev_b32 v9, 2, v0
	v_mov_b32_e32 v10, 0x7c
	s_mov_b32 s4, s15
	s_waitcnt lgkmcnt(0)
	s_and_b32 s5, s5, 0xffff
	s_delay_alu instid0(SALU_CYCLE_1) | instskip(NEXT) | instid1(SALU_CYCLE_1)
	s_mul_i32 s5, s15, s5
	v_add_lshl_u32 v1, s5, v0, 3
	s_delay_alu instid0(VALU_DEP_1) | instskip(NEXT) | instid1(VALU_DEP_1)
	v_lshlrev_b64 v[1:2], 2, v[1:2]
	v_add_co_u32 v5, vcc_lo, s0, v1
	s_delay_alu instid0(VALU_DEP_2)
	v_add_co_ci_u32_e32 v6, vcc_lo, s1, v2, vcc_lo
	s_movk_i32 s0, 0x64
	s_clause 0x1
	global_load_b128 v[1:4], v[5:6], off
	global_load_b128 v[5:8], v[5:6], off offset:16
	s_set_inst_prefetch_distance 0x1
	.p2align	6
.LBB186_1:                              ; =>This Inner Loop Header: Depth=1
	s_waitcnt vmcnt(1) lgkmcnt(0)
	v_add_f32_e32 v1, v1, v2
	s_waitcnt vmcnt(0)
	s_barrier
	buffer_gl0_inv
	ds_load_2addr_b32 v[11:12], v9 offset0:32 offset1:64
	v_add_f32_e32 v1, v3, v1
	ds_load_2addr_b32 v[13:14], v9 offset0:96 offset1:128
	ds_load_2addr_b32 v[15:16], v9 offset0:160 offset1:192
	s_add_i32 s0, s0, -1
	s_delay_alu instid0(SALU_CYCLE_1) | instskip(SKIP_1) | instid1(VALU_DEP_1)
	s_cmp_eq_u32 s0, 0
	v_add_f32_e32 v1, v4, v1
	v_add_f32_e32 v1, v5, v1
	s_delay_alu instid0(VALU_DEP_1) | instskip(NEXT) | instid1(VALU_DEP_1)
	v_add_f32_e32 v1, v6, v1
	v_add_f32_e32 v1, v7, v1
	s_delay_alu instid0(VALU_DEP_1) | instskip(SKIP_1) | instid1(VALU_DEP_1)
	v_add_f32_e32 v1, v8, v1
	s_waitcnt lgkmcnt(2)
	v_add_f32_e32 v1, v11, v1
	ds_load_b32 v11, v9 offset:896
	v_add_f32_e32 v1, v12, v1
	s_waitcnt lgkmcnt(2)
	s_delay_alu instid0(VALU_DEP_1) | instskip(NEXT) | instid1(VALU_DEP_1)
	v_add_f32_e32 v1, v13, v1
	v_add_f32_e32 v1, v14, v1
	s_waitcnt lgkmcnt(1)
	s_delay_alu instid0(VALU_DEP_1) | instskip(NEXT) | instid1(VALU_DEP_1)
	v_add_f32_e32 v1, v15, v1
	;; [unrolled: 4-line block ×3, first 2 shown]
	v_mov_b32_dpp v11, v1 quad_perm:[1,0,3,2] row_mask:0xf bank_mask:0xf
	s_delay_alu instid0(VALU_DEP_1) | instskip(NEXT) | instid1(VALU_DEP_1)
	v_add_f32_e32 v1, v1, v11
	v_mov_b32_dpp v11, v1 quad_perm:[2,3,0,1] row_mask:0xf bank_mask:0xf
	s_delay_alu instid0(VALU_DEP_1) | instskip(NEXT) | instid1(VALU_DEP_1)
	v_add_f32_e32 v1, v1, v11
	v_mov_b32_dpp v11, v1 row_ror:4 row_mask:0xf bank_mask:0xf
	s_delay_alu instid0(VALU_DEP_1) | instskip(NEXT) | instid1(VALU_DEP_1)
	v_add_f32_e32 v1, v1, v11
	v_mov_b32_dpp v11, v1 row_ror:8 row_mask:0xf bank_mask:0xf
	s_delay_alu instid0(VALU_DEP_1)
	v_add_f32_e32 v1, v1, v11
	ds_swizzle_b32 v11, v1 offset:swizzle(BROADCAST,32,15)
	s_waitcnt lgkmcnt(0)
	v_add_f32_e32 v1, v1, v11
	ds_bpermute_b32 v1, v10, v1
	s_cbranch_scc0 .LBB186_1
; %bb.2:
	s_set_inst_prefetch_distance 0x2
	s_mov_b32 s5, 0
	s_mov_b32 s0, exec_lo
	v_cmpx_eq_u32_e32 0, v0
	s_cbranch_execz .LBB186_4
; %bb.3:
	s_lshl_b64 s[0:1], s[4:5], 2
	v_mov_b32_e32 v0, 0
	s_add_u32 s0, s2, s0
	s_addc_u32 s1, s3, s1
	s_waitcnt lgkmcnt(0)
	global_store_b32 v0, v1, s[0:1]
.LBB186_4:
	s_nop 0
	s_sendmsg sendmsg(MSG_DEALLOC_VGPRS)
	s_endpgm
	.section	.rodata,"a",@progbits
	.p2align	6, 0x0
	.amdhsa_kernel _Z6kernelI6reduceILN6hipcub20BlockReduceAlgorithmE2EEfLj256ELj8ELj100EEvPKT0_PS4_
		.amdhsa_group_segment_fixed_size 1024
		.amdhsa_private_segment_fixed_size 0
		.amdhsa_kernarg_size 272
		.amdhsa_user_sgpr_count 15
		.amdhsa_user_sgpr_dispatch_ptr 0
		.amdhsa_user_sgpr_queue_ptr 0
		.amdhsa_user_sgpr_kernarg_segment_ptr 1
		.amdhsa_user_sgpr_dispatch_id 0
		.amdhsa_user_sgpr_private_segment_size 0
		.amdhsa_wavefront_size32 1
		.amdhsa_uses_dynamic_stack 0
		.amdhsa_enable_private_segment 0
		.amdhsa_system_sgpr_workgroup_id_x 1
		.amdhsa_system_sgpr_workgroup_id_y 0
		.amdhsa_system_sgpr_workgroup_id_z 0
		.amdhsa_system_sgpr_workgroup_info 0
		.amdhsa_system_vgpr_workitem_id 0
		.amdhsa_next_free_vgpr 17
		.amdhsa_next_free_sgpr 16
		.amdhsa_reserve_vcc 1
		.amdhsa_float_round_mode_32 0
		.amdhsa_float_round_mode_16_64 0
		.amdhsa_float_denorm_mode_32 3
		.amdhsa_float_denorm_mode_16_64 3
		.amdhsa_dx10_clamp 1
		.amdhsa_ieee_mode 1
		.amdhsa_fp16_overflow 0
		.amdhsa_workgroup_processor_mode 1
		.amdhsa_memory_ordered 1
		.amdhsa_forward_progress 0
		.amdhsa_shared_vgpr_count 0
		.amdhsa_exception_fp_ieee_invalid_op 0
		.amdhsa_exception_fp_denorm_src 0
		.amdhsa_exception_fp_ieee_div_zero 0
		.amdhsa_exception_fp_ieee_overflow 0
		.amdhsa_exception_fp_ieee_underflow 0
		.amdhsa_exception_fp_ieee_inexact 0
		.amdhsa_exception_int_div_zero 0
	.end_amdhsa_kernel
	.section	.text._Z6kernelI6reduceILN6hipcub20BlockReduceAlgorithmE2EEfLj256ELj8ELj100EEvPKT0_PS4_,"axG",@progbits,_Z6kernelI6reduceILN6hipcub20BlockReduceAlgorithmE2EEfLj256ELj8ELj100EEvPKT0_PS4_,comdat
.Lfunc_end186:
	.size	_Z6kernelI6reduceILN6hipcub20BlockReduceAlgorithmE2EEfLj256ELj8ELj100EEvPKT0_PS4_, .Lfunc_end186-_Z6kernelI6reduceILN6hipcub20BlockReduceAlgorithmE2EEfLj256ELj8ELj100EEvPKT0_PS4_
                                        ; -- End function
	.section	.AMDGPU.csdata,"",@progbits
; Kernel info:
; codeLenInByte = 432
; NumSgprs: 18
; NumVgprs: 17
; ScratchSize: 0
; MemoryBound: 0
; FloatMode: 240
; IeeeMode: 1
; LDSByteSize: 1024 bytes/workgroup (compile time only)
; SGPRBlocks: 2
; VGPRBlocks: 2
; NumSGPRsForWavesPerEU: 18
; NumVGPRsForWavesPerEU: 17
; Occupancy: 16
; WaveLimiterHint : 0
; COMPUTE_PGM_RSRC2:SCRATCH_EN: 0
; COMPUTE_PGM_RSRC2:USER_SGPR: 15
; COMPUTE_PGM_RSRC2:TRAP_HANDLER: 0
; COMPUTE_PGM_RSRC2:TGID_X_EN: 1
; COMPUTE_PGM_RSRC2:TGID_Y_EN: 0
; COMPUTE_PGM_RSRC2:TGID_Z_EN: 0
; COMPUTE_PGM_RSRC2:TIDIG_COMP_CNT: 0
	.section	.text._Z6kernelI6reduceILN6hipcub20BlockReduceAlgorithmE2EEfLj256ELj11ELj100EEvPKT0_PS4_,"axG",@progbits,_Z6kernelI6reduceILN6hipcub20BlockReduceAlgorithmE2EEfLj256ELj11ELj100EEvPKT0_PS4_,comdat
	.protected	_Z6kernelI6reduceILN6hipcub20BlockReduceAlgorithmE2EEfLj256ELj11ELj100EEvPKT0_PS4_ ; -- Begin function _Z6kernelI6reduceILN6hipcub20BlockReduceAlgorithmE2EEfLj256ELj11ELj100EEvPKT0_PS4_
	.globl	_Z6kernelI6reduceILN6hipcub20BlockReduceAlgorithmE2EEfLj256ELj11ELj100EEvPKT0_PS4_
	.p2align	8
	.type	_Z6kernelI6reduceILN6hipcub20BlockReduceAlgorithmE2EEfLj256ELj11ELj100EEvPKT0_PS4_,@function
_Z6kernelI6reduceILN6hipcub20BlockReduceAlgorithmE2EEfLj256ELj11ELj100EEvPKT0_PS4_: ; @_Z6kernelI6reduceILN6hipcub20BlockReduceAlgorithmE2EEfLj256ELj11ELj100EEvPKT0_PS4_
; %bb.0:
	s_load_b32 s2, s[0:1], 0x1c
	s_mov_b32 s4, s15
	s_waitcnt lgkmcnt(0)
	s_and_b32 s2, s2, 0xffff
	s_delay_alu instid0(SALU_CYCLE_1) | instskip(SKIP_1) | instid1(VALU_DEP_1)
	v_mad_u64_u32 v[1:2], null, s4, s2, v[0:1]
	s_load_b128 s[0:3], s[0:1], 0x0
	v_mul_lo_u32 v1, v1, 11
	s_delay_alu instid0(VALU_DEP_1) | instskip(NEXT) | instid1(VALU_DEP_1)
	v_dual_mov_b32 v2, 0 :: v_dual_add_nc_u32 v3, 1, v1
	v_dual_mov_b32 v4, v2 :: v_dual_add_nc_u32 v5, 2, v1
	v_lshlrev_b64 v[17:18], 2, v[1:2]
	v_dual_mov_b32 v6, v2 :: v_dual_add_nc_u32 v7, 3, v1
	s_delay_alu instid0(VALU_DEP_3) | instskip(SKIP_1) | instid1(VALU_DEP_3)
	v_lshlrev_b64 v[3:4], 2, v[3:4]
	v_dual_mov_b32 v8, v2 :: v_dual_add_nc_u32 v9, 4, v1
	v_lshlrev_b64 v[5:6], 2, v[5:6]
	s_waitcnt lgkmcnt(0)
	v_add_co_u32 v17, vcc_lo, s0, v17
	v_dual_mov_b32 v10, v2 :: v_dual_add_nc_u32 v11, 5, v1
	v_add_co_ci_u32_e32 v18, vcc_lo, s1, v18, vcc_lo
	v_lshlrev_b64 v[7:8], 2, v[7:8]
	v_add_co_u32 v3, vcc_lo, s0, v3
	v_dual_mov_b32 v12, v2 :: v_dual_add_nc_u32 v13, 6, v1
	v_add_co_ci_u32_e32 v4, vcc_lo, s1, v4, vcc_lo
	v_lshlrev_b64 v[9:10], 2, v[9:10]
	;; [unrolled: 4-line block ×3, first 2 shown]
	v_add_co_u32 v7, vcc_lo, s0, v7
	v_add_co_ci_u32_e32 v8, vcc_lo, s1, v8, vcc_lo
	v_lshlrev_b64 v[13:14], 2, v[13:14]
	v_add_co_u32 v9, vcc_lo, s0, v9
	v_dual_mov_b32 v16, v2 :: v_dual_add_nc_u32 v19, 8, v1
	v_add_co_ci_u32_e32 v10, vcc_lo, s1, v10, vcc_lo
	v_add_co_u32 v11, vcc_lo, s0, v11
	v_mov_b32_e32 v20, v2
	v_add_co_ci_u32_e32 v12, vcc_lo, s1, v12, vcc_lo
	v_add_co_u32 v21, vcc_lo, s0, v13
	v_lshlrev_b64 v[15:16], 2, v[15:16]
	v_add_co_ci_u32_e32 v22, vcc_lo, s1, v14, vcc_lo
	v_lshlrev_b64 v[13:14], 2, v[19:20]
	v_add_nc_u32_e32 v19, 9, v1
	v_add_nc_u32_e32 v1, 10, v1
	v_add_co_u32 v15, vcc_lo, s0, v15
	v_add_co_ci_u32_e32 v16, vcc_lo, s1, v16, vcc_lo
	s_delay_alu instid0(VALU_DEP_4) | instskip(SKIP_3) | instid1(VALU_DEP_4)
	v_lshlrev_b64 v[19:20], 2, v[19:20]
	v_add_co_u32 v23, vcc_lo, s0, v13
	v_lshlrev_b64 v[1:2], 2, v[1:2]
	v_add_co_ci_u32_e32 v24, vcc_lo, s1, v14, vcc_lo
	v_add_co_u32 v19, vcc_lo, s0, v19
	v_add_co_ci_u32_e32 v20, vcc_lo, s1, v20, vcc_lo
	s_delay_alu instid0(VALU_DEP_4)
	v_add_co_u32 v25, vcc_lo, s0, v1
	v_add_co_ci_u32_e32 v26, vcc_lo, s1, v2, vcc_lo
	s_clause 0xa
	global_load_b32 v13, v[17:18], off
	global_load_b32 v1, v[3:4], off
	;; [unrolled: 1-line block ×11, first 2 shown]
	v_dual_mov_b32 v12, 0x7c :: v_dual_lshlrev_b32 v11, 2, v0
	s_movk_i32 s0, 0x64
	s_set_inst_prefetch_distance 0x1
	.p2align	6
.LBB187_1:                              ; =>This Inner Loop Header: Depth=1
	s_waitcnt vmcnt(9) lgkmcnt(0)
	v_add_f32_e32 v13, v1, v13
	s_waitcnt vmcnt(0)
	s_barrier
	buffer_gl0_inv
	s_add_i32 s0, s0, -1
	v_add_f32_e32 v13, v2, v13
	s_cmp_eq_u32 s0, 0
	s_delay_alu instid0(VALU_DEP_1) | instskip(NEXT) | instid1(VALU_DEP_1)
	v_add_f32_e32 v13, v3, v13
	v_add_f32_e32 v13, v4, v13
	s_delay_alu instid0(VALU_DEP_1) | instskip(NEXT) | instid1(VALU_DEP_1)
	v_add_f32_e32 v13, v5, v13
	v_add_f32_e32 v15, v6, v13
	ds_load_2addr_b32 v[13:14], v11 offset0:32 offset1:64
	v_add_f32_e32 v15, v7, v15
	s_delay_alu instid0(VALU_DEP_1) | instskip(SKIP_2) | instid1(VALU_DEP_1)
	v_add_f32_e32 v17, v8, v15
	ds_load_2addr_b32 v[15:16], v11 offset0:96 offset1:128
	v_add_f32_e32 v17, v9, v17
	v_add_f32_e32 v17, v10, v17
	s_waitcnt lgkmcnt(1)
	s_delay_alu instid0(VALU_DEP_1)
	v_add_f32_e32 v13, v13, v17
	ds_load_2addr_b32 v[17:18], v11 offset0:160 offset1:192
	v_add_f32_e32 v13, v14, v13
	ds_load_b32 v14, v11 offset:896
	s_waitcnt lgkmcnt(2)
	v_add_f32_e32 v13, v15, v13
	s_delay_alu instid0(VALU_DEP_1) | instskip(SKIP_1) | instid1(VALU_DEP_1)
	v_add_f32_e32 v13, v16, v13
	s_waitcnt lgkmcnt(1)
	v_add_f32_e32 v13, v17, v13
	s_delay_alu instid0(VALU_DEP_1) | instskip(SKIP_1) | instid1(VALU_DEP_1)
	v_add_f32_e32 v13, v18, v13
	s_waitcnt lgkmcnt(0)
	v_add_f32_e32 v13, v14, v13
	s_delay_alu instid0(VALU_DEP_1) | instskip(NEXT) | instid1(VALU_DEP_1)
	v_mov_b32_dpp v14, v13 quad_perm:[1,0,3,2] row_mask:0xf bank_mask:0xf
	v_add_f32_e32 v13, v13, v14
	s_delay_alu instid0(VALU_DEP_1) | instskip(NEXT) | instid1(VALU_DEP_1)
	v_mov_b32_dpp v14, v13 quad_perm:[2,3,0,1] row_mask:0xf bank_mask:0xf
	v_add_f32_e32 v13, v13, v14
	s_delay_alu instid0(VALU_DEP_1) | instskip(NEXT) | instid1(VALU_DEP_1)
	v_mov_b32_dpp v14, v13 row_ror:4 row_mask:0xf bank_mask:0xf
	v_add_f32_e32 v13, v13, v14
	s_delay_alu instid0(VALU_DEP_1) | instskip(NEXT) | instid1(VALU_DEP_1)
	v_mov_b32_dpp v14, v13 row_ror:8 row_mask:0xf bank_mask:0xf
	v_add_f32_e32 v13, v13, v14
	ds_swizzle_b32 v14, v13 offset:swizzle(BROADCAST,32,15)
	s_waitcnt lgkmcnt(0)
	v_add_f32_e32 v13, v13, v14
	ds_bpermute_b32 v13, v12, v13
	s_cbranch_scc0 .LBB187_1
; %bb.2:
	s_set_inst_prefetch_distance 0x2
	s_mov_b32 s5, 0
	s_mov_b32 s0, exec_lo
	v_cmpx_eq_u32_e32 0, v0
	s_cbranch_execz .LBB187_4
; %bb.3:
	s_lshl_b64 s[0:1], s[4:5], 2
	v_mov_b32_e32 v0, 0
	s_add_u32 s0, s2, s0
	s_addc_u32 s1, s3, s1
	s_waitcnt lgkmcnt(0)
	global_store_b32 v0, v13, s[0:1]
.LBB187_4:
	s_nop 0
	s_sendmsg sendmsg(MSG_DEALLOC_VGPRS)
	s_endpgm
	.section	.rodata,"a",@progbits
	.p2align	6, 0x0
	.amdhsa_kernel _Z6kernelI6reduceILN6hipcub20BlockReduceAlgorithmE2EEfLj256ELj11ELj100EEvPKT0_PS4_
		.amdhsa_group_segment_fixed_size 1024
		.amdhsa_private_segment_fixed_size 0
		.amdhsa_kernarg_size 272
		.amdhsa_user_sgpr_count 15
		.amdhsa_user_sgpr_dispatch_ptr 0
		.amdhsa_user_sgpr_queue_ptr 0
		.amdhsa_user_sgpr_kernarg_segment_ptr 1
		.amdhsa_user_sgpr_dispatch_id 0
		.amdhsa_user_sgpr_private_segment_size 0
		.amdhsa_wavefront_size32 1
		.amdhsa_uses_dynamic_stack 0
		.amdhsa_enable_private_segment 0
		.amdhsa_system_sgpr_workgroup_id_x 1
		.amdhsa_system_sgpr_workgroup_id_y 0
		.amdhsa_system_sgpr_workgroup_id_z 0
		.amdhsa_system_sgpr_workgroup_info 0
		.amdhsa_system_vgpr_workitem_id 0
		.amdhsa_next_free_vgpr 27
		.amdhsa_next_free_sgpr 16
		.amdhsa_reserve_vcc 1
		.amdhsa_float_round_mode_32 0
		.amdhsa_float_round_mode_16_64 0
		.amdhsa_float_denorm_mode_32 3
		.amdhsa_float_denorm_mode_16_64 3
		.amdhsa_dx10_clamp 1
		.amdhsa_ieee_mode 1
		.amdhsa_fp16_overflow 0
		.amdhsa_workgroup_processor_mode 1
		.amdhsa_memory_ordered 1
		.amdhsa_forward_progress 0
		.amdhsa_shared_vgpr_count 0
		.amdhsa_exception_fp_ieee_invalid_op 0
		.amdhsa_exception_fp_denorm_src 0
		.amdhsa_exception_fp_ieee_div_zero 0
		.amdhsa_exception_fp_ieee_overflow 0
		.amdhsa_exception_fp_ieee_underflow 0
		.amdhsa_exception_fp_ieee_inexact 0
		.amdhsa_exception_int_div_zero 0
	.end_amdhsa_kernel
	.section	.text._Z6kernelI6reduceILN6hipcub20BlockReduceAlgorithmE2EEfLj256ELj11ELj100EEvPKT0_PS4_,"axG",@progbits,_Z6kernelI6reduceILN6hipcub20BlockReduceAlgorithmE2EEfLj256ELj11ELj100EEvPKT0_PS4_,comdat
.Lfunc_end187:
	.size	_Z6kernelI6reduceILN6hipcub20BlockReduceAlgorithmE2EEfLj256ELj11ELj100EEvPKT0_PS4_, .Lfunc_end187-_Z6kernelI6reduceILN6hipcub20BlockReduceAlgorithmE2EEfLj256ELj11ELj100EEvPKT0_PS4_
                                        ; -- End function
	.section	.AMDGPU.csdata,"",@progbits
; Kernel info:
; codeLenInByte = 800
; NumSgprs: 18
; NumVgprs: 27
; ScratchSize: 0
; MemoryBound: 0
; FloatMode: 240
; IeeeMode: 1
; LDSByteSize: 1024 bytes/workgroup (compile time only)
; SGPRBlocks: 2
; VGPRBlocks: 3
; NumSGPRsForWavesPerEU: 18
; NumVGPRsForWavesPerEU: 27
; Occupancy: 16
; WaveLimiterHint : 0
; COMPUTE_PGM_RSRC2:SCRATCH_EN: 0
; COMPUTE_PGM_RSRC2:USER_SGPR: 15
; COMPUTE_PGM_RSRC2:TRAP_HANDLER: 0
; COMPUTE_PGM_RSRC2:TGID_X_EN: 1
; COMPUTE_PGM_RSRC2:TGID_Y_EN: 0
; COMPUTE_PGM_RSRC2:TGID_Z_EN: 0
; COMPUTE_PGM_RSRC2:TIDIG_COMP_CNT: 0
	.section	.text._Z6kernelI6reduceILN6hipcub20BlockReduceAlgorithmE2EEfLj256ELj16ELj100EEvPKT0_PS4_,"axG",@progbits,_Z6kernelI6reduceILN6hipcub20BlockReduceAlgorithmE2EEfLj256ELj16ELj100EEvPKT0_PS4_,comdat
	.protected	_Z6kernelI6reduceILN6hipcub20BlockReduceAlgorithmE2EEfLj256ELj16ELj100EEvPKT0_PS4_ ; -- Begin function _Z6kernelI6reduceILN6hipcub20BlockReduceAlgorithmE2EEfLj256ELj16ELj100EEvPKT0_PS4_
	.globl	_Z6kernelI6reduceILN6hipcub20BlockReduceAlgorithmE2EEfLj256ELj16ELj100EEvPKT0_PS4_
	.p2align	8
	.type	_Z6kernelI6reduceILN6hipcub20BlockReduceAlgorithmE2EEfLj256ELj16ELj100EEvPKT0_PS4_,@function
_Z6kernelI6reduceILN6hipcub20BlockReduceAlgorithmE2EEfLj256ELj16ELj100EEvPKT0_PS4_: ; @_Z6kernelI6reduceILN6hipcub20BlockReduceAlgorithmE2EEfLj256ELj16ELj100EEvPKT0_PS4_
; %bb.0:
	s_clause 0x1
	s_load_b32 s5, s[0:1], 0x1c
	s_load_b128 s[0:3], s[0:1], 0x0
	v_dual_mov_b32 v2, 0 :: v_dual_lshlrev_b32 v17, 2, v0
	v_mov_b32_e32 v18, 0x7c
	s_mov_b32 s4, s15
	s_waitcnt lgkmcnt(0)
	s_and_b32 s5, s5, 0xffff
	s_delay_alu instid0(SALU_CYCLE_1) | instskip(NEXT) | instid1(SALU_CYCLE_1)
	s_mul_i32 s5, s15, s5
	v_add_lshl_u32 v1, s5, v0, 4
	s_delay_alu instid0(VALU_DEP_1) | instskip(NEXT) | instid1(VALU_DEP_1)
	v_lshlrev_b64 v[1:2], 2, v[1:2]
	v_add_co_u32 v13, vcc_lo, s0, v1
	s_delay_alu instid0(VALU_DEP_2)
	v_add_co_ci_u32_e32 v14, vcc_lo, s1, v2, vcc_lo
	s_movk_i32 s0, 0x64
	s_clause 0x3
	global_load_b128 v[1:4], v[13:14], off
	global_load_b128 v[5:8], v[13:14], off offset:16
	global_load_b128 v[9:12], v[13:14], off offset:32
	;; [unrolled: 1-line block ×3, first 2 shown]
.LBB188_1:                              ; =>This Inner Loop Header: Depth=1
	s_waitcnt vmcnt(3) lgkmcnt(0)
	v_add_f32_e32 v1, v2, v1
	s_waitcnt vmcnt(0)
	s_barrier
	buffer_gl0_inv
	ds_load_2addr_b32 v[19:20], v17 offset0:32 offset1:64
	v_add_f32_e32 v1, v3, v1
	ds_load_2addr_b32 v[21:22], v17 offset0:96 offset1:128
	ds_load_2addr_b32 v[23:24], v17 offset0:160 offset1:192
	s_add_i32 s0, s0, -1
	s_delay_alu instid0(SALU_CYCLE_1) | instskip(SKIP_1) | instid1(VALU_DEP_1)
	s_cmp_eq_u32 s0, 0
	v_add_f32_e32 v1, v4, v1
	v_add_f32_e32 v1, v5, v1
	s_delay_alu instid0(VALU_DEP_1) | instskip(NEXT) | instid1(VALU_DEP_1)
	v_add_f32_e32 v1, v6, v1
	v_add_f32_e32 v1, v7, v1
	s_delay_alu instid0(VALU_DEP_1) | instskip(NEXT) | instid1(VALU_DEP_1)
	;; [unrolled: 3-line block ×5, first 2 shown]
	v_add_f32_e32 v1, v14, v1
	v_add_f32_e32 v1, v15, v1
	s_delay_alu instid0(VALU_DEP_1) | instskip(SKIP_1) | instid1(VALU_DEP_1)
	v_add_f32_e32 v1, v16, v1
	s_waitcnt lgkmcnt(2)
	v_add_f32_e32 v1, v19, v1
	ds_load_b32 v19, v17 offset:896
	v_add_f32_e32 v1, v20, v1
	s_waitcnt lgkmcnt(2)
	s_delay_alu instid0(VALU_DEP_1) | instskip(NEXT) | instid1(VALU_DEP_1)
	v_add_f32_e32 v1, v21, v1
	v_add_f32_e32 v1, v22, v1
	s_waitcnt lgkmcnt(1)
	s_delay_alu instid0(VALU_DEP_1) | instskip(NEXT) | instid1(VALU_DEP_1)
	v_add_f32_e32 v1, v23, v1
	;; [unrolled: 4-line block ×3, first 2 shown]
	v_mov_b32_dpp v19, v1 quad_perm:[1,0,3,2] row_mask:0xf bank_mask:0xf
	s_delay_alu instid0(VALU_DEP_1) | instskip(NEXT) | instid1(VALU_DEP_1)
	v_add_f32_e32 v1, v1, v19
	v_mov_b32_dpp v19, v1 quad_perm:[2,3,0,1] row_mask:0xf bank_mask:0xf
	s_delay_alu instid0(VALU_DEP_1) | instskip(NEXT) | instid1(VALU_DEP_1)
	v_add_f32_e32 v1, v1, v19
	v_mov_b32_dpp v19, v1 row_ror:4 row_mask:0xf bank_mask:0xf
	s_delay_alu instid0(VALU_DEP_1) | instskip(NEXT) | instid1(VALU_DEP_1)
	v_add_f32_e32 v1, v1, v19
	v_mov_b32_dpp v19, v1 row_ror:8 row_mask:0xf bank_mask:0xf
	s_delay_alu instid0(VALU_DEP_1)
	v_add_f32_e32 v1, v1, v19
	ds_swizzle_b32 v19, v1 offset:swizzle(BROADCAST,32,15)
	s_waitcnt lgkmcnt(0)
	v_add_f32_e32 v1, v1, v19
	ds_bpermute_b32 v1, v18, v1
	s_cbranch_scc0 .LBB188_1
; %bb.2:
	s_mov_b32 s5, 0
	s_mov_b32 s0, exec_lo
	v_cmpx_eq_u32_e32 0, v0
	s_cbranch_execz .LBB188_4
; %bb.3:
	s_lshl_b64 s[0:1], s[4:5], 2
	v_mov_b32_e32 v0, 0
	s_add_u32 s0, s2, s0
	s_addc_u32 s1, s3, s1
	s_waitcnt lgkmcnt(0)
	global_store_b32 v0, v1, s[0:1]
.LBB188_4:
	s_nop 0
	s_sendmsg sendmsg(MSG_DEALLOC_VGPRS)
	s_endpgm
	.section	.rodata,"a",@progbits
	.p2align	6, 0x0
	.amdhsa_kernel _Z6kernelI6reduceILN6hipcub20BlockReduceAlgorithmE2EEfLj256ELj16ELj100EEvPKT0_PS4_
		.amdhsa_group_segment_fixed_size 1024
		.amdhsa_private_segment_fixed_size 0
		.amdhsa_kernarg_size 272
		.amdhsa_user_sgpr_count 15
		.amdhsa_user_sgpr_dispatch_ptr 0
		.amdhsa_user_sgpr_queue_ptr 0
		.amdhsa_user_sgpr_kernarg_segment_ptr 1
		.amdhsa_user_sgpr_dispatch_id 0
		.amdhsa_user_sgpr_private_segment_size 0
		.amdhsa_wavefront_size32 1
		.amdhsa_uses_dynamic_stack 0
		.amdhsa_enable_private_segment 0
		.amdhsa_system_sgpr_workgroup_id_x 1
		.amdhsa_system_sgpr_workgroup_id_y 0
		.amdhsa_system_sgpr_workgroup_id_z 0
		.amdhsa_system_sgpr_workgroup_info 0
		.amdhsa_system_vgpr_workitem_id 0
		.amdhsa_next_free_vgpr 25
		.amdhsa_next_free_sgpr 16
		.amdhsa_reserve_vcc 1
		.amdhsa_float_round_mode_32 0
		.amdhsa_float_round_mode_16_64 0
		.amdhsa_float_denorm_mode_32 3
		.amdhsa_float_denorm_mode_16_64 3
		.amdhsa_dx10_clamp 1
		.amdhsa_ieee_mode 1
		.amdhsa_fp16_overflow 0
		.amdhsa_workgroup_processor_mode 1
		.amdhsa_memory_ordered 1
		.amdhsa_forward_progress 0
		.amdhsa_shared_vgpr_count 0
		.amdhsa_exception_fp_ieee_invalid_op 0
		.amdhsa_exception_fp_denorm_src 0
		.amdhsa_exception_fp_ieee_div_zero 0
		.amdhsa_exception_fp_ieee_overflow 0
		.amdhsa_exception_fp_ieee_underflow 0
		.amdhsa_exception_fp_ieee_inexact 0
		.amdhsa_exception_int_div_zero 0
	.end_amdhsa_kernel
	.section	.text._Z6kernelI6reduceILN6hipcub20BlockReduceAlgorithmE2EEfLj256ELj16ELj100EEvPKT0_PS4_,"axG",@progbits,_Z6kernelI6reduceILN6hipcub20BlockReduceAlgorithmE2EEfLj256ELj16ELj100EEvPKT0_PS4_,comdat
.Lfunc_end188:
	.size	_Z6kernelI6reduceILN6hipcub20BlockReduceAlgorithmE2EEfLj256ELj16ELj100EEvPKT0_PS4_, .Lfunc_end188-_Z6kernelI6reduceILN6hipcub20BlockReduceAlgorithmE2EEfLj256ELj16ELj100EEvPKT0_PS4_
                                        ; -- End function
	.section	.AMDGPU.csdata,"",@progbits
; Kernel info:
; codeLenInByte = 488
; NumSgprs: 18
; NumVgprs: 25
; ScratchSize: 0
; MemoryBound: 0
; FloatMode: 240
; IeeeMode: 1
; LDSByteSize: 1024 bytes/workgroup (compile time only)
; SGPRBlocks: 2
; VGPRBlocks: 3
; NumSGPRsForWavesPerEU: 18
; NumVGPRsForWavesPerEU: 25
; Occupancy: 16
; WaveLimiterHint : 0
; COMPUTE_PGM_RSRC2:SCRATCH_EN: 0
; COMPUTE_PGM_RSRC2:USER_SGPR: 15
; COMPUTE_PGM_RSRC2:TRAP_HANDLER: 0
; COMPUTE_PGM_RSRC2:TGID_X_EN: 1
; COMPUTE_PGM_RSRC2:TGID_Y_EN: 0
; COMPUTE_PGM_RSRC2:TGID_Z_EN: 0
; COMPUTE_PGM_RSRC2:TIDIG_COMP_CNT: 0
	.section	.text._Z6kernelI6reduceILN6hipcub20BlockReduceAlgorithmE2EEdLj256ELj1ELj100EEvPKT0_PS4_,"axG",@progbits,_Z6kernelI6reduceILN6hipcub20BlockReduceAlgorithmE2EEdLj256ELj1ELj100EEvPKT0_PS4_,comdat
	.protected	_Z6kernelI6reduceILN6hipcub20BlockReduceAlgorithmE2EEdLj256ELj1ELj100EEvPKT0_PS4_ ; -- Begin function _Z6kernelI6reduceILN6hipcub20BlockReduceAlgorithmE2EEdLj256ELj1ELj100EEvPKT0_PS4_
	.globl	_Z6kernelI6reduceILN6hipcub20BlockReduceAlgorithmE2EEdLj256ELj1ELj100EEvPKT0_PS4_
	.p2align	8
	.type	_Z6kernelI6reduceILN6hipcub20BlockReduceAlgorithmE2EEdLj256ELj1ELj100EEvPKT0_PS4_,@function
_Z6kernelI6reduceILN6hipcub20BlockReduceAlgorithmE2EEdLj256ELj1ELj100EEvPKT0_PS4_: ; @_Z6kernelI6reduceILN6hipcub20BlockReduceAlgorithmE2EEdLj256ELj1ELj100EEvPKT0_PS4_
; %bb.0:
	s_clause 0x1
	s_load_b32 s5, s[0:1], 0x1c
	s_load_b128 s[0:3], s[0:1], 0x0
	s_mov_b32 s4, s15
	v_dual_mov_b32 v4, 0x7c :: v_dual_lshlrev_b32 v3, 2, v0
	s_delay_alu instid0(VALU_DEP_1) | instskip(SKIP_3) | instid1(SALU_CYCLE_1)
	v_add_nc_u32_e32 v5, 0x80, v3
	v_add_nc_u32_e32 v6, 0x400, v3
	s_waitcnt lgkmcnt(0)
	s_and_b32 s5, s5, 0xffff
	v_mad_u64_u32 v[1:2], null, s4, s5, v[0:1]
	v_mov_b32_e32 v2, 0
	s_delay_alu instid0(VALU_DEP_1) | instskip(NEXT) | instid1(VALU_DEP_1)
	v_lshlrev_b64 v[1:2], 3, v[1:2]
	v_add_co_u32 v1, vcc_lo, s0, v1
	s_delay_alu instid0(VALU_DEP_2)
	v_add_co_ci_u32_e32 v2, vcc_lo, s1, v2, vcc_lo
	s_movk_i32 s0, 0x64
	global_load_b64 v[1:2], v[1:2], off
.LBB189_1:                              ; =>This Inner Loop Header: Depth=1
	s_waitcnt vmcnt(0) lgkmcnt(0)
	s_barrier
	buffer_gl0_inv
	ds_load_2addr_b32 v[7:8], v3 offset0:32 offset1:64
	ds_load_2addr_stride64_b32 v[9:10], v5 offset0:3 offset1:4
	s_add_i32 s0, s0, -1
	s_delay_alu instid0(SALU_CYCLE_1) | instskip(SKIP_2) | instid1(VALU_DEP_1)
	s_cmp_eq_u32 s0, 0
	s_waitcnt lgkmcnt(0)
	v_dual_mov_b32 v11, v7 :: v_dual_mov_b32 v12, v10
	v_add_f64 v[1:2], v[1:2], v[11:12]
	ds_load_2addr_b32 v[10:11], v6 offset0:64 offset1:96
	s_waitcnt lgkmcnt(0)
	v_dual_mov_b32 v7, v8 :: v_dual_mov_b32 v8, v10
	s_delay_alu instid0(VALU_DEP_1) | instskip(SKIP_3) | instid1(VALU_DEP_1)
	v_add_f64 v[1:2], v[1:2], v[7:8]
	ds_load_2addr_b32 v[7:8], v3 offset0:96 offset1:128
	s_waitcnt lgkmcnt(0)
	v_dual_mov_b32 v10, v7 :: v_dual_mov_b32 v7, v8
	v_add_f64 v[1:2], v[1:2], v[10:11]
	ds_load_2addr_b32 v[10:11], v6 offset0:128 offset1:160
	s_waitcnt lgkmcnt(0)
	v_mov_b32_e32 v8, v10
	s_delay_alu instid0(VALU_DEP_1) | instskip(SKIP_3) | instid1(VALU_DEP_1)
	v_add_f64 v[1:2], v[1:2], v[7:8]
	ds_load_2addr_b32 v[7:8], v3 offset0:160 offset1:192
	s_waitcnt lgkmcnt(0)
	v_dual_mov_b32 v10, v7 :: v_dual_mov_b32 v7, v8
	v_add_f64 v[1:2], v[1:2], v[10:11]
	ds_load_2addr_b32 v[10:11], v6 offset0:192 offset1:224
	s_waitcnt lgkmcnt(0)
	v_mov_b32_e32 v8, v10
	v_mov_b32_e32 v10, v11
	s_delay_alu instid0(VALU_DEP_2) | instskip(NEXT) | instid1(VALU_DEP_1)
	v_add_f64 v[1:2], v[1:2], v[7:8]
	v_add_f64 v[1:2], v[1:2], v[9:10]
	s_delay_alu instid0(VALU_DEP_1) | instskip(NEXT) | instid1(VALU_DEP_2)
	v_mov_b32_dpp v7, v1 quad_perm:[1,0,3,2] row_mask:0xf bank_mask:0xf
	v_mov_b32_dpp v8, v2 quad_perm:[1,0,3,2] row_mask:0xf bank_mask:0xf
	s_delay_alu instid0(VALU_DEP_1) | instskip(NEXT) | instid1(VALU_DEP_1)
	v_add_f64 v[1:2], v[1:2], v[7:8]
	v_mov_b32_dpp v7, v1 quad_perm:[2,3,0,1] row_mask:0xf bank_mask:0xf
	s_delay_alu instid0(VALU_DEP_2) | instskip(NEXT) | instid1(VALU_DEP_1)
	v_mov_b32_dpp v8, v2 quad_perm:[2,3,0,1] row_mask:0xf bank_mask:0xf
	v_add_f64 v[1:2], v[1:2], v[7:8]
	s_delay_alu instid0(VALU_DEP_1) | instskip(NEXT) | instid1(VALU_DEP_2)
	v_mov_b32_dpp v7, v1 row_ror:4 row_mask:0xf bank_mask:0xf
	v_mov_b32_dpp v8, v2 row_ror:4 row_mask:0xf bank_mask:0xf
	s_delay_alu instid0(VALU_DEP_1) | instskip(NEXT) | instid1(VALU_DEP_1)
	v_add_f64 v[1:2], v[1:2], v[7:8]
	v_mov_b32_dpp v7, v1 row_ror:8 row_mask:0xf bank_mask:0xf
	s_delay_alu instid0(VALU_DEP_2) | instskip(NEXT) | instid1(VALU_DEP_1)
	v_mov_b32_dpp v8, v2 row_ror:8 row_mask:0xf bank_mask:0xf
	v_add_f64 v[1:2], v[1:2], v[7:8]
	ds_swizzle_b32 v7, v1 offset:swizzle(BROADCAST,32,15)
	ds_swizzle_b32 v8, v2 offset:swizzle(BROADCAST,32,15)
	s_waitcnt lgkmcnt(0)
	v_add_f64 v[1:2], v[1:2], v[7:8]
	ds_bpermute_b32 v1, v4, v1
	ds_bpermute_b32 v2, v4, v2
	s_cbranch_scc0 .LBB189_1
; %bb.2:
	s_mov_b32 s5, 0
	s_mov_b32 s0, exec_lo
	v_cmpx_eq_u32_e32 0, v0
	s_cbranch_execz .LBB189_4
; %bb.3:
	s_lshl_b64 s[0:1], s[4:5], 3
	v_mov_b32_e32 v0, 0
	s_add_u32 s0, s2, s0
	s_addc_u32 s1, s3, s1
	s_waitcnt lgkmcnt(0)
	global_store_b64 v0, v[1:2], s[0:1]
.LBB189_4:
	s_nop 0
	s_sendmsg sendmsg(MSG_DEALLOC_VGPRS)
	s_endpgm
	.section	.rodata,"a",@progbits
	.p2align	6, 0x0
	.amdhsa_kernel _Z6kernelI6reduceILN6hipcub20BlockReduceAlgorithmE2EEdLj256ELj1ELj100EEvPKT0_PS4_
		.amdhsa_group_segment_fixed_size 2048
		.amdhsa_private_segment_fixed_size 0
		.amdhsa_kernarg_size 272
		.amdhsa_user_sgpr_count 15
		.amdhsa_user_sgpr_dispatch_ptr 0
		.amdhsa_user_sgpr_queue_ptr 0
		.amdhsa_user_sgpr_kernarg_segment_ptr 1
		.amdhsa_user_sgpr_dispatch_id 0
		.amdhsa_user_sgpr_private_segment_size 0
		.amdhsa_wavefront_size32 1
		.amdhsa_uses_dynamic_stack 0
		.amdhsa_enable_private_segment 0
		.amdhsa_system_sgpr_workgroup_id_x 1
		.amdhsa_system_sgpr_workgroup_id_y 0
		.amdhsa_system_sgpr_workgroup_id_z 0
		.amdhsa_system_sgpr_workgroup_info 0
		.amdhsa_system_vgpr_workitem_id 0
		.amdhsa_next_free_vgpr 13
		.amdhsa_next_free_sgpr 16
		.amdhsa_reserve_vcc 1
		.amdhsa_float_round_mode_32 0
		.amdhsa_float_round_mode_16_64 0
		.amdhsa_float_denorm_mode_32 3
		.amdhsa_float_denorm_mode_16_64 3
		.amdhsa_dx10_clamp 1
		.amdhsa_ieee_mode 1
		.amdhsa_fp16_overflow 0
		.amdhsa_workgroup_processor_mode 1
		.amdhsa_memory_ordered 1
		.amdhsa_forward_progress 0
		.amdhsa_shared_vgpr_count 0
		.amdhsa_exception_fp_ieee_invalid_op 0
		.amdhsa_exception_fp_denorm_src 0
		.amdhsa_exception_fp_ieee_div_zero 0
		.amdhsa_exception_fp_ieee_overflow 0
		.amdhsa_exception_fp_ieee_underflow 0
		.amdhsa_exception_fp_ieee_inexact 0
		.amdhsa_exception_int_div_zero 0
	.end_amdhsa_kernel
	.section	.text._Z6kernelI6reduceILN6hipcub20BlockReduceAlgorithmE2EEdLj256ELj1ELj100EEvPKT0_PS4_,"axG",@progbits,_Z6kernelI6reduceILN6hipcub20BlockReduceAlgorithmE2EEdLj256ELj1ELj100EEvPKT0_PS4_,comdat
.Lfunc_end189:
	.size	_Z6kernelI6reduceILN6hipcub20BlockReduceAlgorithmE2EEdLj256ELj1ELj100EEvPKT0_PS4_, .Lfunc_end189-_Z6kernelI6reduceILN6hipcub20BlockReduceAlgorithmE2EEdLj256ELj1ELj100EEvPKT0_PS4_
                                        ; -- End function
	.section	.AMDGPU.csdata,"",@progbits
; Kernel info:
; codeLenInByte = 564
; NumSgprs: 18
; NumVgprs: 13
; ScratchSize: 0
; MemoryBound: 0
; FloatMode: 240
; IeeeMode: 1
; LDSByteSize: 2048 bytes/workgroup (compile time only)
; SGPRBlocks: 2
; VGPRBlocks: 1
; NumSGPRsForWavesPerEU: 18
; NumVGPRsForWavesPerEU: 13
; Occupancy: 16
; WaveLimiterHint : 0
; COMPUTE_PGM_RSRC2:SCRATCH_EN: 0
; COMPUTE_PGM_RSRC2:USER_SGPR: 15
; COMPUTE_PGM_RSRC2:TRAP_HANDLER: 0
; COMPUTE_PGM_RSRC2:TGID_X_EN: 1
; COMPUTE_PGM_RSRC2:TGID_Y_EN: 0
; COMPUTE_PGM_RSRC2:TGID_Z_EN: 0
; COMPUTE_PGM_RSRC2:TIDIG_COMP_CNT: 0
	.section	.text._Z6kernelI6reduceILN6hipcub20BlockReduceAlgorithmE2EEdLj256ELj2ELj100EEvPKT0_PS4_,"axG",@progbits,_Z6kernelI6reduceILN6hipcub20BlockReduceAlgorithmE2EEdLj256ELj2ELj100EEvPKT0_PS4_,comdat
	.protected	_Z6kernelI6reduceILN6hipcub20BlockReduceAlgorithmE2EEdLj256ELj2ELj100EEvPKT0_PS4_ ; -- Begin function _Z6kernelI6reduceILN6hipcub20BlockReduceAlgorithmE2EEdLj256ELj2ELj100EEvPKT0_PS4_
	.globl	_Z6kernelI6reduceILN6hipcub20BlockReduceAlgorithmE2EEdLj256ELj2ELj100EEvPKT0_PS4_
	.p2align	8
	.type	_Z6kernelI6reduceILN6hipcub20BlockReduceAlgorithmE2EEdLj256ELj2ELj100EEvPKT0_PS4_,@function
_Z6kernelI6reduceILN6hipcub20BlockReduceAlgorithmE2EEdLj256ELj2ELj100EEvPKT0_PS4_: ; @_Z6kernelI6reduceILN6hipcub20BlockReduceAlgorithmE2EEdLj256ELj2ELj100EEvPKT0_PS4_
; %bb.0:
	s_clause 0x1
	s_load_b32 s5, s[0:1], 0x1c
	s_load_b128 s[0:3], s[0:1], 0x0
	v_dual_mov_b32 v2, 0 :: v_dual_lshlrev_b32 v5, 2, v0
	v_mov_b32_e32 v6, 0x7c
	s_mov_b32 s4, s15
	s_delay_alu instid0(VALU_DEP_2) | instskip(SKIP_3) | instid1(SALU_CYCLE_1)
	v_add_nc_u32_e32 v7, 0x80, v5
	v_add_nc_u32_e32 v8, 0x400, v5
	s_waitcnt lgkmcnt(0)
	s_and_b32 s5, s5, 0xffff
	s_mul_i32 s5, s15, s5
	s_delay_alu instid0(SALU_CYCLE_1) | instskip(NEXT) | instid1(VALU_DEP_1)
	v_add_lshl_u32 v1, s5, v0, 1
	v_lshlrev_b64 v[1:2], 3, v[1:2]
	s_delay_alu instid0(VALU_DEP_1) | instskip(NEXT) | instid1(VALU_DEP_2)
	v_add_co_u32 v1, vcc_lo, s0, v1
	v_add_co_ci_u32_e32 v2, vcc_lo, s1, v2, vcc_lo
	s_movk_i32 s0, 0x64
	global_load_b128 v[1:4], v[1:2], off
.LBB190_1:                              ; =>This Inner Loop Header: Depth=1
	s_waitcnt vmcnt(0) lgkmcnt(0)
	v_add_f64 v[1:2], v[1:2], v[3:4]
	s_barrier
	buffer_gl0_inv
	ds_load_2addr_b32 v[9:10], v5 offset0:32 offset1:64
	ds_load_2addr_stride64_b32 v[11:12], v7 offset0:3 offset1:4
	s_add_i32 s0, s0, -1
	s_delay_alu instid0(SALU_CYCLE_1) | instskip(SKIP_2) | instid1(VALU_DEP_1)
	s_cmp_eq_u32 s0, 0
	s_waitcnt lgkmcnt(0)
	v_dual_mov_b32 v13, v9 :: v_dual_mov_b32 v14, v12
	v_add_f64 v[1:2], v[1:2], v[13:14]
	ds_load_2addr_b32 v[12:13], v8 offset0:64 offset1:96
	s_waitcnt lgkmcnt(0)
	v_dual_mov_b32 v9, v10 :: v_dual_mov_b32 v10, v12
	s_delay_alu instid0(VALU_DEP_1) | instskip(SKIP_3) | instid1(VALU_DEP_1)
	v_add_f64 v[1:2], v[1:2], v[9:10]
	ds_load_2addr_b32 v[9:10], v5 offset0:96 offset1:128
	s_waitcnt lgkmcnt(0)
	v_dual_mov_b32 v12, v9 :: v_dual_mov_b32 v9, v10
	v_add_f64 v[1:2], v[1:2], v[12:13]
	ds_load_2addr_b32 v[12:13], v8 offset0:128 offset1:160
	s_waitcnt lgkmcnt(0)
	v_mov_b32_e32 v10, v12
	s_delay_alu instid0(VALU_DEP_1) | instskip(SKIP_3) | instid1(VALU_DEP_1)
	v_add_f64 v[1:2], v[1:2], v[9:10]
	ds_load_2addr_b32 v[9:10], v5 offset0:160 offset1:192
	s_waitcnt lgkmcnt(0)
	v_dual_mov_b32 v12, v9 :: v_dual_mov_b32 v9, v10
	v_add_f64 v[1:2], v[1:2], v[12:13]
	ds_load_2addr_b32 v[12:13], v8 offset0:192 offset1:224
	s_waitcnt lgkmcnt(0)
	v_mov_b32_e32 v10, v12
	v_mov_b32_e32 v12, v13
	s_delay_alu instid0(VALU_DEP_2) | instskip(NEXT) | instid1(VALU_DEP_1)
	v_add_f64 v[1:2], v[1:2], v[9:10]
	v_add_f64 v[1:2], v[1:2], v[11:12]
	s_delay_alu instid0(VALU_DEP_1) | instskip(NEXT) | instid1(VALU_DEP_2)
	v_mov_b32_dpp v9, v1 quad_perm:[1,0,3,2] row_mask:0xf bank_mask:0xf
	v_mov_b32_dpp v10, v2 quad_perm:[1,0,3,2] row_mask:0xf bank_mask:0xf
	s_delay_alu instid0(VALU_DEP_1) | instskip(NEXT) | instid1(VALU_DEP_1)
	v_add_f64 v[1:2], v[1:2], v[9:10]
	v_mov_b32_dpp v9, v1 quad_perm:[2,3,0,1] row_mask:0xf bank_mask:0xf
	s_delay_alu instid0(VALU_DEP_2) | instskip(NEXT) | instid1(VALU_DEP_1)
	v_mov_b32_dpp v10, v2 quad_perm:[2,3,0,1] row_mask:0xf bank_mask:0xf
	v_add_f64 v[1:2], v[1:2], v[9:10]
	s_delay_alu instid0(VALU_DEP_1) | instskip(NEXT) | instid1(VALU_DEP_2)
	v_mov_b32_dpp v9, v1 row_ror:4 row_mask:0xf bank_mask:0xf
	v_mov_b32_dpp v10, v2 row_ror:4 row_mask:0xf bank_mask:0xf
	s_delay_alu instid0(VALU_DEP_1) | instskip(NEXT) | instid1(VALU_DEP_1)
	v_add_f64 v[1:2], v[1:2], v[9:10]
	v_mov_b32_dpp v9, v1 row_ror:8 row_mask:0xf bank_mask:0xf
	s_delay_alu instid0(VALU_DEP_2) | instskip(NEXT) | instid1(VALU_DEP_1)
	v_mov_b32_dpp v10, v2 row_ror:8 row_mask:0xf bank_mask:0xf
	v_add_f64 v[1:2], v[1:2], v[9:10]
	ds_swizzle_b32 v9, v1 offset:swizzle(BROADCAST,32,15)
	ds_swizzle_b32 v10, v2 offset:swizzle(BROADCAST,32,15)
	s_waitcnt lgkmcnt(0)
	v_add_f64 v[1:2], v[1:2], v[9:10]
	ds_bpermute_b32 v1, v6, v1
	ds_bpermute_b32 v2, v6, v2
	s_cbranch_scc0 .LBB190_1
; %bb.2:
	s_mov_b32 s5, 0
	s_mov_b32 s0, exec_lo
	v_cmpx_eq_u32_e32 0, v0
	s_cbranch_execz .LBB190_4
; %bb.3:
	s_lshl_b64 s[0:1], s[4:5], 3
	v_mov_b32_e32 v0, 0
	s_add_u32 s0, s2, s0
	s_addc_u32 s1, s3, s1
	s_waitcnt lgkmcnt(0)
	global_store_b64 v0, v[1:2], s[0:1]
.LBB190_4:
	s_nop 0
	s_sendmsg sendmsg(MSG_DEALLOC_VGPRS)
	s_endpgm
	.section	.rodata,"a",@progbits
	.p2align	6, 0x0
	.amdhsa_kernel _Z6kernelI6reduceILN6hipcub20BlockReduceAlgorithmE2EEdLj256ELj2ELj100EEvPKT0_PS4_
		.amdhsa_group_segment_fixed_size 2048
		.amdhsa_private_segment_fixed_size 0
		.amdhsa_kernarg_size 272
		.amdhsa_user_sgpr_count 15
		.amdhsa_user_sgpr_dispatch_ptr 0
		.amdhsa_user_sgpr_queue_ptr 0
		.amdhsa_user_sgpr_kernarg_segment_ptr 1
		.amdhsa_user_sgpr_dispatch_id 0
		.amdhsa_user_sgpr_private_segment_size 0
		.amdhsa_wavefront_size32 1
		.amdhsa_uses_dynamic_stack 0
		.amdhsa_enable_private_segment 0
		.amdhsa_system_sgpr_workgroup_id_x 1
		.amdhsa_system_sgpr_workgroup_id_y 0
		.amdhsa_system_sgpr_workgroup_id_z 0
		.amdhsa_system_sgpr_workgroup_info 0
		.amdhsa_system_vgpr_workitem_id 0
		.amdhsa_next_free_vgpr 15
		.amdhsa_next_free_sgpr 16
		.amdhsa_reserve_vcc 1
		.amdhsa_float_round_mode_32 0
		.amdhsa_float_round_mode_16_64 0
		.amdhsa_float_denorm_mode_32 3
		.amdhsa_float_denorm_mode_16_64 3
		.amdhsa_dx10_clamp 1
		.amdhsa_ieee_mode 1
		.amdhsa_fp16_overflow 0
		.amdhsa_workgroup_processor_mode 1
		.amdhsa_memory_ordered 1
		.amdhsa_forward_progress 0
		.amdhsa_shared_vgpr_count 0
		.amdhsa_exception_fp_ieee_invalid_op 0
		.amdhsa_exception_fp_denorm_src 0
		.amdhsa_exception_fp_ieee_div_zero 0
		.amdhsa_exception_fp_ieee_overflow 0
		.amdhsa_exception_fp_ieee_underflow 0
		.amdhsa_exception_fp_ieee_inexact 0
		.amdhsa_exception_int_div_zero 0
	.end_amdhsa_kernel
	.section	.text._Z6kernelI6reduceILN6hipcub20BlockReduceAlgorithmE2EEdLj256ELj2ELj100EEvPKT0_PS4_,"axG",@progbits,_Z6kernelI6reduceILN6hipcub20BlockReduceAlgorithmE2EEdLj256ELj2ELj100EEvPKT0_PS4_,comdat
.Lfunc_end190:
	.size	_Z6kernelI6reduceILN6hipcub20BlockReduceAlgorithmE2EEdLj256ELj2ELj100EEvPKT0_PS4_, .Lfunc_end190-_Z6kernelI6reduceILN6hipcub20BlockReduceAlgorithmE2EEdLj256ELj2ELj100EEvPKT0_PS4_
                                        ; -- End function
	.section	.AMDGPU.csdata,"",@progbits
; Kernel info:
; codeLenInByte = 576
; NumSgprs: 18
; NumVgprs: 15
; ScratchSize: 0
; MemoryBound: 0
; FloatMode: 240
; IeeeMode: 1
; LDSByteSize: 2048 bytes/workgroup (compile time only)
; SGPRBlocks: 2
; VGPRBlocks: 1
; NumSGPRsForWavesPerEU: 18
; NumVGPRsForWavesPerEU: 15
; Occupancy: 16
; WaveLimiterHint : 0
; COMPUTE_PGM_RSRC2:SCRATCH_EN: 0
; COMPUTE_PGM_RSRC2:USER_SGPR: 15
; COMPUTE_PGM_RSRC2:TRAP_HANDLER: 0
; COMPUTE_PGM_RSRC2:TGID_X_EN: 1
; COMPUTE_PGM_RSRC2:TGID_Y_EN: 0
; COMPUTE_PGM_RSRC2:TGID_Z_EN: 0
; COMPUTE_PGM_RSRC2:TIDIG_COMP_CNT: 0
	.section	.text._Z6kernelI6reduceILN6hipcub20BlockReduceAlgorithmE2EEdLj256ELj3ELj100EEvPKT0_PS4_,"axG",@progbits,_Z6kernelI6reduceILN6hipcub20BlockReduceAlgorithmE2EEdLj256ELj3ELj100EEvPKT0_PS4_,comdat
	.protected	_Z6kernelI6reduceILN6hipcub20BlockReduceAlgorithmE2EEdLj256ELj3ELj100EEvPKT0_PS4_ ; -- Begin function _Z6kernelI6reduceILN6hipcub20BlockReduceAlgorithmE2EEdLj256ELj3ELj100EEvPKT0_PS4_
	.globl	_Z6kernelI6reduceILN6hipcub20BlockReduceAlgorithmE2EEdLj256ELj3ELj100EEvPKT0_PS4_
	.p2align	8
	.type	_Z6kernelI6reduceILN6hipcub20BlockReduceAlgorithmE2EEdLj256ELj3ELj100EEvPKT0_PS4_,@function
_Z6kernelI6reduceILN6hipcub20BlockReduceAlgorithmE2EEdLj256ELj3ELj100EEvPKT0_PS4_: ; @_Z6kernelI6reduceILN6hipcub20BlockReduceAlgorithmE2EEdLj256ELj3ELj100EEvPKT0_PS4_
; %bb.0:
	s_load_b32 s2, s[0:1], 0x1c
	s_mov_b32 s4, s15
	s_waitcnt lgkmcnt(0)
	s_and_b32 s2, s2, 0xffff
	s_delay_alu instid0(SALU_CYCLE_1) | instskip(SKIP_1) | instid1(VALU_DEP_1)
	v_mad_u64_u32 v[1:2], null, s4, s2, v[0:1]
	s_load_b128 s[0:3], s[0:1], 0x0
	v_lshl_add_u32 v1, v1, 1, v1
	s_delay_alu instid0(VALU_DEP_1) | instskip(NEXT) | instid1(VALU_DEP_1)
	v_dual_mov_b32 v2, 0 :: v_dual_add_nc_u32 v3, 1, v1
	v_mov_b32_e32 v4, v2
	v_lshlrev_b64 v[5:6], 3, v[1:2]
	v_add_nc_u32_e32 v1, 2, v1
	s_delay_alu instid0(VALU_DEP_3) | instskip(NEXT) | instid1(VALU_DEP_2)
	v_lshlrev_b64 v[3:4], 3, v[3:4]
	v_lshlrev_b64 v[1:2], 3, v[1:2]
	s_waitcnt lgkmcnt(0)
	s_delay_alu instid0(VALU_DEP_4) | instskip(SKIP_1) | instid1(VALU_DEP_4)
	v_add_co_u32 v5, vcc_lo, s0, v5
	v_add_co_ci_u32_e32 v6, vcc_lo, s1, v6, vcc_lo
	v_add_co_u32 v3, vcc_lo, s0, v3
	v_add_co_ci_u32_e32 v4, vcc_lo, s1, v4, vcc_lo
	;; [unrolled: 2-line block ×3, first 2 shown]
	s_clause 0x2
	global_load_b64 v[5:6], v[5:6], off
	global_load_b64 v[1:2], v[3:4], off
	;; [unrolled: 1-line block ×3, first 2 shown]
	v_dual_mov_b32 v8, 0x7c :: v_dual_lshlrev_b32 v7, 2, v0
	s_movk_i32 s0, 0x64
	s_delay_alu instid0(VALU_DEP_1)
	v_add_nc_u32_e32 v9, 0x80, v7
	v_add_nc_u32_e32 v10, 0x400, v7
.LBB191_1:                              ; =>This Inner Loop Header: Depth=1
	s_waitcnt vmcnt(1) lgkmcnt(0)
	v_add_f64 v[5:6], v[5:6], v[1:2]
	s_waitcnt vmcnt(0)
	s_barrier
	buffer_gl0_inv
	ds_load_2addr_b32 v[11:12], v7 offset0:32 offset1:64
	ds_load_2addr_stride64_b32 v[13:14], v9 offset0:3 offset1:4
	s_add_i32 s0, s0, -1
	s_delay_alu instid0(SALU_CYCLE_1) | instskip(SKIP_3) | instid1(VALU_DEP_1)
	s_cmp_eq_u32 s0, 0
	s_waitcnt lgkmcnt(0)
	v_dual_mov_b32 v15, v11 :: v_dual_mov_b32 v16, v14
	v_add_f64 v[5:6], v[3:4], v[5:6]
	v_add_f64 v[5:6], v[5:6], v[15:16]
	ds_load_2addr_b32 v[14:15], v10 offset0:64 offset1:96
	s_waitcnt lgkmcnt(0)
	v_dual_mov_b32 v11, v12 :: v_dual_mov_b32 v12, v14
	s_delay_alu instid0(VALU_DEP_1) | instskip(SKIP_3) | instid1(VALU_DEP_1)
	v_add_f64 v[5:6], v[5:6], v[11:12]
	ds_load_2addr_b32 v[11:12], v7 offset0:96 offset1:128
	s_waitcnt lgkmcnt(0)
	v_dual_mov_b32 v14, v11 :: v_dual_mov_b32 v11, v12
	v_add_f64 v[5:6], v[5:6], v[14:15]
	ds_load_2addr_b32 v[14:15], v10 offset0:128 offset1:160
	s_waitcnt lgkmcnt(0)
	v_mov_b32_e32 v12, v14
	s_delay_alu instid0(VALU_DEP_1) | instskip(SKIP_3) | instid1(VALU_DEP_1)
	v_add_f64 v[5:6], v[5:6], v[11:12]
	ds_load_2addr_b32 v[11:12], v7 offset0:160 offset1:192
	s_waitcnt lgkmcnt(0)
	v_dual_mov_b32 v14, v11 :: v_dual_mov_b32 v11, v12
	v_add_f64 v[5:6], v[5:6], v[14:15]
	ds_load_2addr_b32 v[14:15], v10 offset0:192 offset1:224
	s_waitcnt lgkmcnt(0)
	v_mov_b32_e32 v12, v14
	v_mov_b32_e32 v14, v15
	s_delay_alu instid0(VALU_DEP_2) | instskip(NEXT) | instid1(VALU_DEP_1)
	v_add_f64 v[5:6], v[5:6], v[11:12]
	v_add_f64 v[5:6], v[5:6], v[13:14]
	s_delay_alu instid0(VALU_DEP_1) | instskip(NEXT) | instid1(VALU_DEP_2)
	v_mov_b32_dpp v11, v5 quad_perm:[1,0,3,2] row_mask:0xf bank_mask:0xf
	v_mov_b32_dpp v12, v6 quad_perm:[1,0,3,2] row_mask:0xf bank_mask:0xf
	s_delay_alu instid0(VALU_DEP_1) | instskip(NEXT) | instid1(VALU_DEP_1)
	v_add_f64 v[5:6], v[5:6], v[11:12]
	v_mov_b32_dpp v11, v5 quad_perm:[2,3,0,1] row_mask:0xf bank_mask:0xf
	s_delay_alu instid0(VALU_DEP_2) | instskip(NEXT) | instid1(VALU_DEP_1)
	v_mov_b32_dpp v12, v6 quad_perm:[2,3,0,1] row_mask:0xf bank_mask:0xf
	v_add_f64 v[5:6], v[5:6], v[11:12]
	s_delay_alu instid0(VALU_DEP_1) | instskip(NEXT) | instid1(VALU_DEP_2)
	v_mov_b32_dpp v11, v5 row_ror:4 row_mask:0xf bank_mask:0xf
	v_mov_b32_dpp v12, v6 row_ror:4 row_mask:0xf bank_mask:0xf
	s_delay_alu instid0(VALU_DEP_1) | instskip(NEXT) | instid1(VALU_DEP_1)
	v_add_f64 v[5:6], v[5:6], v[11:12]
	v_mov_b32_dpp v11, v5 row_ror:8 row_mask:0xf bank_mask:0xf
	s_delay_alu instid0(VALU_DEP_2) | instskip(NEXT) | instid1(VALU_DEP_1)
	v_mov_b32_dpp v12, v6 row_ror:8 row_mask:0xf bank_mask:0xf
	v_add_f64 v[5:6], v[5:6], v[11:12]
	ds_swizzle_b32 v11, v5 offset:swizzle(BROADCAST,32,15)
	ds_swizzle_b32 v12, v6 offset:swizzle(BROADCAST,32,15)
	s_waitcnt lgkmcnt(0)
	v_add_f64 v[5:6], v[5:6], v[11:12]
	ds_bpermute_b32 v5, v8, v5
	ds_bpermute_b32 v6, v8, v6
	s_cbranch_scc0 .LBB191_1
; %bb.2:
	s_mov_b32 s5, 0
	s_mov_b32 s0, exec_lo
	v_cmpx_eq_u32_e32 0, v0
	s_cbranch_execz .LBB191_4
; %bb.3:
	s_lshl_b64 s[0:1], s[4:5], 3
	v_mov_b32_e32 v0, 0
	s_add_u32 s0, s2, s0
	s_addc_u32 s1, s3, s1
	s_waitcnt lgkmcnt(0)
	global_store_b64 v0, v[5:6], s[0:1]
.LBB191_4:
	s_nop 0
	s_sendmsg sendmsg(MSG_DEALLOC_VGPRS)
	s_endpgm
	.section	.rodata,"a",@progbits
	.p2align	6, 0x0
	.amdhsa_kernel _Z6kernelI6reduceILN6hipcub20BlockReduceAlgorithmE2EEdLj256ELj3ELj100EEvPKT0_PS4_
		.amdhsa_group_segment_fixed_size 2048
		.amdhsa_private_segment_fixed_size 0
		.amdhsa_kernarg_size 272
		.amdhsa_user_sgpr_count 15
		.amdhsa_user_sgpr_dispatch_ptr 0
		.amdhsa_user_sgpr_queue_ptr 0
		.amdhsa_user_sgpr_kernarg_segment_ptr 1
		.amdhsa_user_sgpr_dispatch_id 0
		.amdhsa_user_sgpr_private_segment_size 0
		.amdhsa_wavefront_size32 1
		.amdhsa_uses_dynamic_stack 0
		.amdhsa_enable_private_segment 0
		.amdhsa_system_sgpr_workgroup_id_x 1
		.amdhsa_system_sgpr_workgroup_id_y 0
		.amdhsa_system_sgpr_workgroup_id_z 0
		.amdhsa_system_sgpr_workgroup_info 0
		.amdhsa_system_vgpr_workitem_id 0
		.amdhsa_next_free_vgpr 17
		.amdhsa_next_free_sgpr 16
		.amdhsa_reserve_vcc 1
		.amdhsa_float_round_mode_32 0
		.amdhsa_float_round_mode_16_64 0
		.amdhsa_float_denorm_mode_32 3
		.amdhsa_float_denorm_mode_16_64 3
		.amdhsa_dx10_clamp 1
		.amdhsa_ieee_mode 1
		.amdhsa_fp16_overflow 0
		.amdhsa_workgroup_processor_mode 1
		.amdhsa_memory_ordered 1
		.amdhsa_forward_progress 0
		.amdhsa_shared_vgpr_count 0
		.amdhsa_exception_fp_ieee_invalid_op 0
		.amdhsa_exception_fp_denorm_src 0
		.amdhsa_exception_fp_ieee_div_zero 0
		.amdhsa_exception_fp_ieee_overflow 0
		.amdhsa_exception_fp_ieee_underflow 0
		.amdhsa_exception_fp_ieee_inexact 0
		.amdhsa_exception_int_div_zero 0
	.end_amdhsa_kernel
	.section	.text._Z6kernelI6reduceILN6hipcub20BlockReduceAlgorithmE2EEdLj256ELj3ELj100EEvPKT0_PS4_,"axG",@progbits,_Z6kernelI6reduceILN6hipcub20BlockReduceAlgorithmE2EEdLj256ELj3ELj100EEvPKT0_PS4_,comdat
.Lfunc_end191:
	.size	_Z6kernelI6reduceILN6hipcub20BlockReduceAlgorithmE2EEdLj256ELj3ELj100EEvPKT0_PS4_, .Lfunc_end191-_Z6kernelI6reduceILN6hipcub20BlockReduceAlgorithmE2EEdLj256ELj3ELj100EEvPKT0_PS4_
                                        ; -- End function
	.section	.AMDGPU.csdata,"",@progbits
; Kernel info:
; codeLenInByte = 672
; NumSgprs: 18
; NumVgprs: 17
; ScratchSize: 0
; MemoryBound: 0
; FloatMode: 240
; IeeeMode: 1
; LDSByteSize: 2048 bytes/workgroup (compile time only)
; SGPRBlocks: 2
; VGPRBlocks: 2
; NumSGPRsForWavesPerEU: 18
; NumVGPRsForWavesPerEU: 17
; Occupancy: 16
; WaveLimiterHint : 0
; COMPUTE_PGM_RSRC2:SCRATCH_EN: 0
; COMPUTE_PGM_RSRC2:USER_SGPR: 15
; COMPUTE_PGM_RSRC2:TRAP_HANDLER: 0
; COMPUTE_PGM_RSRC2:TGID_X_EN: 1
; COMPUTE_PGM_RSRC2:TGID_Y_EN: 0
; COMPUTE_PGM_RSRC2:TGID_Z_EN: 0
; COMPUTE_PGM_RSRC2:TIDIG_COMP_CNT: 0
	.section	.text._Z6kernelI6reduceILN6hipcub20BlockReduceAlgorithmE2EEdLj256ELj4ELj100EEvPKT0_PS4_,"axG",@progbits,_Z6kernelI6reduceILN6hipcub20BlockReduceAlgorithmE2EEdLj256ELj4ELj100EEvPKT0_PS4_,comdat
	.protected	_Z6kernelI6reduceILN6hipcub20BlockReduceAlgorithmE2EEdLj256ELj4ELj100EEvPKT0_PS4_ ; -- Begin function _Z6kernelI6reduceILN6hipcub20BlockReduceAlgorithmE2EEdLj256ELj4ELj100EEvPKT0_PS4_
	.globl	_Z6kernelI6reduceILN6hipcub20BlockReduceAlgorithmE2EEdLj256ELj4ELj100EEvPKT0_PS4_
	.p2align	8
	.type	_Z6kernelI6reduceILN6hipcub20BlockReduceAlgorithmE2EEdLj256ELj4ELj100EEvPKT0_PS4_,@function
_Z6kernelI6reduceILN6hipcub20BlockReduceAlgorithmE2EEdLj256ELj4ELj100EEvPKT0_PS4_: ; @_Z6kernelI6reduceILN6hipcub20BlockReduceAlgorithmE2EEdLj256ELj4ELj100EEvPKT0_PS4_
; %bb.0:
	s_clause 0x1
	s_load_b32 s5, s[0:1], 0x1c
	s_load_b128 s[0:3], s[0:1], 0x0
	v_dual_mov_b32 v2, 0 :: v_dual_lshlrev_b32 v9, 2, v0
	v_mov_b32_e32 v10, 0x7c
	s_mov_b32 s4, s15
	s_delay_alu instid0(VALU_DEP_2) | instskip(SKIP_3) | instid1(SALU_CYCLE_1)
	v_add_nc_u32_e32 v11, 0x80, v9
	v_add_nc_u32_e32 v12, 0x400, v9
	s_waitcnt lgkmcnt(0)
	s_and_b32 s5, s5, 0xffff
	s_mul_i32 s5, s15, s5
	s_delay_alu instid0(SALU_CYCLE_1) | instskip(NEXT) | instid1(VALU_DEP_1)
	v_add_lshl_u32 v1, s5, v0, 2
	v_lshlrev_b64 v[1:2], 3, v[1:2]
	s_delay_alu instid0(VALU_DEP_1) | instskip(NEXT) | instid1(VALU_DEP_2)
	v_add_co_u32 v1, vcc_lo, s0, v1
	v_add_co_ci_u32_e32 v2, vcc_lo, s1, v2, vcc_lo
	s_movk_i32 s0, 0x64
	s_clause 0x1
	global_load_b128 v[5:8], v[1:2], off offset:16
	global_load_b128 v[1:4], v[1:2], off
.LBB192_1:                              ; =>This Inner Loop Header: Depth=1
	s_waitcnt vmcnt(0) lgkmcnt(0)
	v_add_f64 v[1:2], v[1:2], v[3:4]
	s_barrier
	buffer_gl0_inv
	ds_load_2addr_b32 v[13:14], v9 offset0:32 offset1:64
	ds_load_2addr_stride64_b32 v[15:16], v11 offset0:3 offset1:4
	s_add_i32 s0, s0, -1
	s_delay_alu instid0(SALU_CYCLE_1) | instskip(SKIP_3) | instid1(VALU_DEP_1)
	s_cmp_eq_u32 s0, 0
	s_waitcnt lgkmcnt(0)
	v_dual_mov_b32 v17, v13 :: v_dual_mov_b32 v18, v16
	v_add_f64 v[1:2], v[5:6], v[1:2]
	v_add_f64 v[1:2], v[7:8], v[1:2]
	s_delay_alu instid0(VALU_DEP_1) | instskip(SKIP_3) | instid1(VALU_DEP_1)
	v_add_f64 v[1:2], v[1:2], v[17:18]
	ds_load_2addr_b32 v[16:17], v12 offset0:64 offset1:96
	s_waitcnt lgkmcnt(0)
	v_dual_mov_b32 v13, v14 :: v_dual_mov_b32 v14, v16
	v_add_f64 v[1:2], v[1:2], v[13:14]
	ds_load_2addr_b32 v[13:14], v9 offset0:96 offset1:128
	s_waitcnt lgkmcnt(0)
	v_dual_mov_b32 v16, v13 :: v_dual_mov_b32 v13, v14
	s_delay_alu instid0(VALU_DEP_1) | instskip(SKIP_3) | instid1(VALU_DEP_1)
	v_add_f64 v[1:2], v[1:2], v[16:17]
	ds_load_2addr_b32 v[16:17], v12 offset0:128 offset1:160
	s_waitcnt lgkmcnt(0)
	v_mov_b32_e32 v14, v16
	v_add_f64 v[1:2], v[1:2], v[13:14]
	ds_load_2addr_b32 v[13:14], v9 offset0:160 offset1:192
	s_waitcnt lgkmcnt(0)
	v_dual_mov_b32 v16, v13 :: v_dual_mov_b32 v13, v14
	s_delay_alu instid0(VALU_DEP_1) | instskip(SKIP_4) | instid1(VALU_DEP_2)
	v_add_f64 v[1:2], v[1:2], v[16:17]
	ds_load_2addr_b32 v[16:17], v12 offset0:192 offset1:224
	s_waitcnt lgkmcnt(0)
	v_mov_b32_e32 v14, v16
	v_mov_b32_e32 v16, v17
	v_add_f64 v[1:2], v[1:2], v[13:14]
	s_delay_alu instid0(VALU_DEP_1) | instskip(NEXT) | instid1(VALU_DEP_1)
	v_add_f64 v[1:2], v[1:2], v[15:16]
	v_mov_b32_dpp v13, v1 quad_perm:[1,0,3,2] row_mask:0xf bank_mask:0xf
	s_delay_alu instid0(VALU_DEP_2) | instskip(NEXT) | instid1(VALU_DEP_1)
	v_mov_b32_dpp v14, v2 quad_perm:[1,0,3,2] row_mask:0xf bank_mask:0xf
	v_add_f64 v[1:2], v[1:2], v[13:14]
	s_delay_alu instid0(VALU_DEP_1) | instskip(NEXT) | instid1(VALU_DEP_2)
	v_mov_b32_dpp v13, v1 quad_perm:[2,3,0,1] row_mask:0xf bank_mask:0xf
	v_mov_b32_dpp v14, v2 quad_perm:[2,3,0,1] row_mask:0xf bank_mask:0xf
	s_delay_alu instid0(VALU_DEP_1) | instskip(NEXT) | instid1(VALU_DEP_1)
	v_add_f64 v[1:2], v[1:2], v[13:14]
	v_mov_b32_dpp v13, v1 row_ror:4 row_mask:0xf bank_mask:0xf
	s_delay_alu instid0(VALU_DEP_2) | instskip(NEXT) | instid1(VALU_DEP_1)
	v_mov_b32_dpp v14, v2 row_ror:4 row_mask:0xf bank_mask:0xf
	v_add_f64 v[1:2], v[1:2], v[13:14]
	s_delay_alu instid0(VALU_DEP_1) | instskip(NEXT) | instid1(VALU_DEP_2)
	v_mov_b32_dpp v13, v1 row_ror:8 row_mask:0xf bank_mask:0xf
	v_mov_b32_dpp v14, v2 row_ror:8 row_mask:0xf bank_mask:0xf
	s_delay_alu instid0(VALU_DEP_1)
	v_add_f64 v[1:2], v[1:2], v[13:14]
	ds_swizzle_b32 v13, v1 offset:swizzle(BROADCAST,32,15)
	ds_swizzle_b32 v14, v2 offset:swizzle(BROADCAST,32,15)
	s_waitcnt lgkmcnt(0)
	v_add_f64 v[1:2], v[1:2], v[13:14]
	ds_bpermute_b32 v1, v10, v1
	ds_bpermute_b32 v2, v10, v2
	s_cbranch_scc0 .LBB192_1
; %bb.2:
	s_mov_b32 s5, 0
	s_mov_b32 s0, exec_lo
	v_cmpx_eq_u32_e32 0, v0
	s_cbranch_execz .LBB192_4
; %bb.3:
	s_lshl_b64 s[0:1], s[4:5], 3
	v_mov_b32_e32 v0, 0
	s_add_u32 s0, s2, s0
	s_addc_u32 s1, s3, s1
	s_waitcnt lgkmcnt(0)
	global_store_b64 v0, v[1:2], s[0:1]
.LBB192_4:
	s_nop 0
	s_sendmsg sendmsg(MSG_DEALLOC_VGPRS)
	s_endpgm
	.section	.rodata,"a",@progbits
	.p2align	6, 0x0
	.amdhsa_kernel _Z6kernelI6reduceILN6hipcub20BlockReduceAlgorithmE2EEdLj256ELj4ELj100EEvPKT0_PS4_
		.amdhsa_group_segment_fixed_size 2048
		.amdhsa_private_segment_fixed_size 0
		.amdhsa_kernarg_size 272
		.amdhsa_user_sgpr_count 15
		.amdhsa_user_sgpr_dispatch_ptr 0
		.amdhsa_user_sgpr_queue_ptr 0
		.amdhsa_user_sgpr_kernarg_segment_ptr 1
		.amdhsa_user_sgpr_dispatch_id 0
		.amdhsa_user_sgpr_private_segment_size 0
		.amdhsa_wavefront_size32 1
		.amdhsa_uses_dynamic_stack 0
		.amdhsa_enable_private_segment 0
		.amdhsa_system_sgpr_workgroup_id_x 1
		.amdhsa_system_sgpr_workgroup_id_y 0
		.amdhsa_system_sgpr_workgroup_id_z 0
		.amdhsa_system_sgpr_workgroup_info 0
		.amdhsa_system_vgpr_workitem_id 0
		.amdhsa_next_free_vgpr 19
		.amdhsa_next_free_sgpr 16
		.amdhsa_reserve_vcc 1
		.amdhsa_float_round_mode_32 0
		.amdhsa_float_round_mode_16_64 0
		.amdhsa_float_denorm_mode_32 3
		.amdhsa_float_denorm_mode_16_64 3
		.amdhsa_dx10_clamp 1
		.amdhsa_ieee_mode 1
		.amdhsa_fp16_overflow 0
		.amdhsa_workgroup_processor_mode 1
		.amdhsa_memory_ordered 1
		.amdhsa_forward_progress 0
		.amdhsa_shared_vgpr_count 0
		.amdhsa_exception_fp_ieee_invalid_op 0
		.amdhsa_exception_fp_denorm_src 0
		.amdhsa_exception_fp_ieee_div_zero 0
		.amdhsa_exception_fp_ieee_overflow 0
		.amdhsa_exception_fp_ieee_underflow 0
		.amdhsa_exception_fp_ieee_inexact 0
		.amdhsa_exception_int_div_zero 0
	.end_amdhsa_kernel
	.section	.text._Z6kernelI6reduceILN6hipcub20BlockReduceAlgorithmE2EEdLj256ELj4ELj100EEvPKT0_PS4_,"axG",@progbits,_Z6kernelI6reduceILN6hipcub20BlockReduceAlgorithmE2EEdLj256ELj4ELj100EEvPKT0_PS4_,comdat
.Lfunc_end192:
	.size	_Z6kernelI6reduceILN6hipcub20BlockReduceAlgorithmE2EEdLj256ELj4ELj100EEvPKT0_PS4_, .Lfunc_end192-_Z6kernelI6reduceILN6hipcub20BlockReduceAlgorithmE2EEdLj256ELj4ELj100EEvPKT0_PS4_
                                        ; -- End function
	.section	.AMDGPU.csdata,"",@progbits
; Kernel info:
; codeLenInByte = 608
; NumSgprs: 18
; NumVgprs: 19
; ScratchSize: 0
; MemoryBound: 0
; FloatMode: 240
; IeeeMode: 1
; LDSByteSize: 2048 bytes/workgroup (compile time only)
; SGPRBlocks: 2
; VGPRBlocks: 2
; NumSGPRsForWavesPerEU: 18
; NumVGPRsForWavesPerEU: 19
; Occupancy: 16
; WaveLimiterHint : 0
; COMPUTE_PGM_RSRC2:SCRATCH_EN: 0
; COMPUTE_PGM_RSRC2:USER_SGPR: 15
; COMPUTE_PGM_RSRC2:TRAP_HANDLER: 0
; COMPUTE_PGM_RSRC2:TGID_X_EN: 1
; COMPUTE_PGM_RSRC2:TGID_Y_EN: 0
; COMPUTE_PGM_RSRC2:TGID_Z_EN: 0
; COMPUTE_PGM_RSRC2:TIDIG_COMP_CNT: 0
	.section	.text._Z6kernelI6reduceILN6hipcub20BlockReduceAlgorithmE2EEdLj256ELj8ELj100EEvPKT0_PS4_,"axG",@progbits,_Z6kernelI6reduceILN6hipcub20BlockReduceAlgorithmE2EEdLj256ELj8ELj100EEvPKT0_PS4_,comdat
	.protected	_Z6kernelI6reduceILN6hipcub20BlockReduceAlgorithmE2EEdLj256ELj8ELj100EEvPKT0_PS4_ ; -- Begin function _Z6kernelI6reduceILN6hipcub20BlockReduceAlgorithmE2EEdLj256ELj8ELj100EEvPKT0_PS4_
	.globl	_Z6kernelI6reduceILN6hipcub20BlockReduceAlgorithmE2EEdLj256ELj8ELj100EEvPKT0_PS4_
	.p2align	8
	.type	_Z6kernelI6reduceILN6hipcub20BlockReduceAlgorithmE2EEdLj256ELj8ELj100EEvPKT0_PS4_,@function
_Z6kernelI6reduceILN6hipcub20BlockReduceAlgorithmE2EEdLj256ELj8ELj100EEvPKT0_PS4_: ; @_Z6kernelI6reduceILN6hipcub20BlockReduceAlgorithmE2EEdLj256ELj8ELj100EEvPKT0_PS4_
; %bb.0:
	s_clause 0x1
	s_load_b32 s5, s[0:1], 0x1c
	s_load_b128 s[0:3], s[0:1], 0x0
	v_dual_mov_b32 v2, 0 :: v_dual_lshlrev_b32 v17, 2, v0
	v_mov_b32_e32 v18, 0x7c
	s_mov_b32 s4, s15
	s_delay_alu instid0(VALU_DEP_2) | instskip(SKIP_3) | instid1(SALU_CYCLE_1)
	v_add_nc_u32_e32 v19, 0x80, v17
	v_add_nc_u32_e32 v20, 0x400, v17
	s_waitcnt lgkmcnt(0)
	s_and_b32 s5, s5, 0xffff
	s_mul_i32 s5, s15, s5
	s_delay_alu instid0(SALU_CYCLE_1) | instskip(NEXT) | instid1(VALU_DEP_1)
	v_add_lshl_u32 v1, s5, v0, 3
	v_lshlrev_b64 v[1:2], 3, v[1:2]
	s_delay_alu instid0(VALU_DEP_1) | instskip(NEXT) | instid1(VALU_DEP_2)
	v_add_co_u32 v1, vcc_lo, s0, v1
	v_add_co_ci_u32_e32 v2, vcc_lo, s1, v2, vcc_lo
	s_movk_i32 s0, 0x64
	s_clause 0x3
	global_load_b128 v[5:8], v[1:2], off offset:48
	global_load_b128 v[9:12], v[1:2], off offset:32
	;; [unrolled: 1-line block ×3, first 2 shown]
	global_load_b128 v[1:4], v[1:2], off
.LBB193_1:                              ; =>This Inner Loop Header: Depth=1
	s_waitcnt vmcnt(0) lgkmcnt(0)
	v_add_f64 v[1:2], v[3:4], v[1:2]
	s_barrier
	buffer_gl0_inv
	ds_load_2addr_b32 v[21:22], v17 offset0:32 offset1:64
	ds_load_2addr_stride64_b32 v[23:24], v19 offset0:3 offset1:4
	s_add_i32 s0, s0, -1
	s_delay_alu instid0(SALU_CYCLE_1) | instskip(SKIP_3) | instid1(VALU_DEP_1)
	s_cmp_eq_u32 s0, 0
	s_waitcnt lgkmcnt(0)
	v_dual_mov_b32 v25, v21 :: v_dual_mov_b32 v26, v24
	v_add_f64 v[1:2], v[13:14], v[1:2]
	v_add_f64 v[1:2], v[15:16], v[1:2]
	s_delay_alu instid0(VALU_DEP_1) | instskip(NEXT) | instid1(VALU_DEP_1)
	v_add_f64 v[1:2], v[9:10], v[1:2]
	v_add_f64 v[1:2], v[11:12], v[1:2]
	s_delay_alu instid0(VALU_DEP_1) | instskip(NEXT) | instid1(VALU_DEP_1)
	v_add_f64 v[1:2], v[5:6], v[1:2]
	v_add_f64 v[1:2], v[7:8], v[1:2]
	s_delay_alu instid0(VALU_DEP_1) | instskip(SKIP_3) | instid1(VALU_DEP_1)
	v_add_f64 v[1:2], v[1:2], v[25:26]
	ds_load_2addr_b32 v[24:25], v20 offset0:64 offset1:96
	s_waitcnt lgkmcnt(0)
	v_dual_mov_b32 v21, v22 :: v_dual_mov_b32 v22, v24
	v_add_f64 v[1:2], v[1:2], v[21:22]
	ds_load_2addr_b32 v[21:22], v17 offset0:96 offset1:128
	s_waitcnt lgkmcnt(0)
	v_dual_mov_b32 v24, v21 :: v_dual_mov_b32 v21, v22
	s_delay_alu instid0(VALU_DEP_1) | instskip(SKIP_3) | instid1(VALU_DEP_1)
	v_add_f64 v[1:2], v[1:2], v[24:25]
	ds_load_2addr_b32 v[24:25], v20 offset0:128 offset1:160
	s_waitcnt lgkmcnt(0)
	v_mov_b32_e32 v22, v24
	v_add_f64 v[1:2], v[1:2], v[21:22]
	ds_load_2addr_b32 v[21:22], v17 offset0:160 offset1:192
	s_waitcnt lgkmcnt(0)
	v_dual_mov_b32 v24, v21 :: v_dual_mov_b32 v21, v22
	s_delay_alu instid0(VALU_DEP_1) | instskip(SKIP_4) | instid1(VALU_DEP_2)
	v_add_f64 v[1:2], v[1:2], v[24:25]
	ds_load_2addr_b32 v[24:25], v20 offset0:192 offset1:224
	s_waitcnt lgkmcnt(0)
	v_mov_b32_e32 v22, v24
	v_mov_b32_e32 v24, v25
	v_add_f64 v[1:2], v[1:2], v[21:22]
	s_delay_alu instid0(VALU_DEP_1) | instskip(NEXT) | instid1(VALU_DEP_1)
	v_add_f64 v[1:2], v[1:2], v[23:24]
	v_mov_b32_dpp v21, v1 quad_perm:[1,0,3,2] row_mask:0xf bank_mask:0xf
	s_delay_alu instid0(VALU_DEP_2) | instskip(NEXT) | instid1(VALU_DEP_1)
	v_mov_b32_dpp v22, v2 quad_perm:[1,0,3,2] row_mask:0xf bank_mask:0xf
	v_add_f64 v[1:2], v[1:2], v[21:22]
	s_delay_alu instid0(VALU_DEP_1) | instskip(NEXT) | instid1(VALU_DEP_2)
	v_mov_b32_dpp v21, v1 quad_perm:[2,3,0,1] row_mask:0xf bank_mask:0xf
	v_mov_b32_dpp v22, v2 quad_perm:[2,3,0,1] row_mask:0xf bank_mask:0xf
	s_delay_alu instid0(VALU_DEP_1) | instskip(NEXT) | instid1(VALU_DEP_1)
	v_add_f64 v[1:2], v[1:2], v[21:22]
	v_mov_b32_dpp v21, v1 row_ror:4 row_mask:0xf bank_mask:0xf
	s_delay_alu instid0(VALU_DEP_2) | instskip(NEXT) | instid1(VALU_DEP_1)
	v_mov_b32_dpp v22, v2 row_ror:4 row_mask:0xf bank_mask:0xf
	v_add_f64 v[1:2], v[1:2], v[21:22]
	s_delay_alu instid0(VALU_DEP_1) | instskip(NEXT) | instid1(VALU_DEP_2)
	v_mov_b32_dpp v21, v1 row_ror:8 row_mask:0xf bank_mask:0xf
	v_mov_b32_dpp v22, v2 row_ror:8 row_mask:0xf bank_mask:0xf
	s_delay_alu instid0(VALU_DEP_1)
	v_add_f64 v[1:2], v[1:2], v[21:22]
	ds_swizzle_b32 v21, v1 offset:swizzle(BROADCAST,32,15)
	ds_swizzle_b32 v22, v2 offset:swizzle(BROADCAST,32,15)
	s_waitcnt lgkmcnt(0)
	v_add_f64 v[1:2], v[1:2], v[21:22]
	ds_bpermute_b32 v1, v18, v1
	ds_bpermute_b32 v2, v18, v2
	s_cbranch_scc0 .LBB193_1
; %bb.2:
	s_mov_b32 s5, 0
	s_mov_b32 s0, exec_lo
	v_cmpx_eq_u32_e32 0, v0
	s_cbranch_execz .LBB193_4
; %bb.3:
	s_lshl_b64 s[0:1], s[4:5], 3
	v_mov_b32_e32 v0, 0
	s_add_u32 s0, s2, s0
	s_addc_u32 s1, s3, s1
	s_waitcnt lgkmcnt(0)
	global_store_b64 v0, v[1:2], s[0:1]
.LBB193_4:
	s_nop 0
	s_sendmsg sendmsg(MSG_DEALLOC_VGPRS)
	s_endpgm
	.section	.rodata,"a",@progbits
	.p2align	6, 0x0
	.amdhsa_kernel _Z6kernelI6reduceILN6hipcub20BlockReduceAlgorithmE2EEdLj256ELj8ELj100EEvPKT0_PS4_
		.amdhsa_group_segment_fixed_size 2048
		.amdhsa_private_segment_fixed_size 0
		.amdhsa_kernarg_size 272
		.amdhsa_user_sgpr_count 15
		.amdhsa_user_sgpr_dispatch_ptr 0
		.amdhsa_user_sgpr_queue_ptr 0
		.amdhsa_user_sgpr_kernarg_segment_ptr 1
		.amdhsa_user_sgpr_dispatch_id 0
		.amdhsa_user_sgpr_private_segment_size 0
		.amdhsa_wavefront_size32 1
		.amdhsa_uses_dynamic_stack 0
		.amdhsa_enable_private_segment 0
		.amdhsa_system_sgpr_workgroup_id_x 1
		.amdhsa_system_sgpr_workgroup_id_y 0
		.amdhsa_system_sgpr_workgroup_id_z 0
		.amdhsa_system_sgpr_workgroup_info 0
		.amdhsa_system_vgpr_workitem_id 0
		.amdhsa_next_free_vgpr 27
		.amdhsa_next_free_sgpr 16
		.amdhsa_reserve_vcc 1
		.amdhsa_float_round_mode_32 0
		.amdhsa_float_round_mode_16_64 0
		.amdhsa_float_denorm_mode_32 3
		.amdhsa_float_denorm_mode_16_64 3
		.amdhsa_dx10_clamp 1
		.amdhsa_ieee_mode 1
		.amdhsa_fp16_overflow 0
		.amdhsa_workgroup_processor_mode 1
		.amdhsa_memory_ordered 1
		.amdhsa_forward_progress 0
		.amdhsa_shared_vgpr_count 0
		.amdhsa_exception_fp_ieee_invalid_op 0
		.amdhsa_exception_fp_denorm_src 0
		.amdhsa_exception_fp_ieee_div_zero 0
		.amdhsa_exception_fp_ieee_overflow 0
		.amdhsa_exception_fp_ieee_underflow 0
		.amdhsa_exception_fp_ieee_inexact 0
		.amdhsa_exception_int_div_zero 0
	.end_amdhsa_kernel
	.section	.text._Z6kernelI6reduceILN6hipcub20BlockReduceAlgorithmE2EEdLj256ELj8ELj100EEvPKT0_PS4_,"axG",@progbits,_Z6kernelI6reduceILN6hipcub20BlockReduceAlgorithmE2EEdLj256ELj8ELj100EEvPKT0_PS4_,comdat
.Lfunc_end193:
	.size	_Z6kernelI6reduceILN6hipcub20BlockReduceAlgorithmE2EEdLj256ELj8ELj100EEvPKT0_PS4_, .Lfunc_end193-_Z6kernelI6reduceILN6hipcub20BlockReduceAlgorithmE2EEdLj256ELj8ELj100EEvPKT0_PS4_
                                        ; -- End function
	.section	.AMDGPU.csdata,"",@progbits
; Kernel info:
; codeLenInByte = 664
; NumSgprs: 18
; NumVgprs: 27
; ScratchSize: 0
; MemoryBound: 1
; FloatMode: 240
; IeeeMode: 1
; LDSByteSize: 2048 bytes/workgroup (compile time only)
; SGPRBlocks: 2
; VGPRBlocks: 3
; NumSGPRsForWavesPerEU: 18
; NumVGPRsForWavesPerEU: 27
; Occupancy: 16
; WaveLimiterHint : 0
; COMPUTE_PGM_RSRC2:SCRATCH_EN: 0
; COMPUTE_PGM_RSRC2:USER_SGPR: 15
; COMPUTE_PGM_RSRC2:TRAP_HANDLER: 0
; COMPUTE_PGM_RSRC2:TGID_X_EN: 1
; COMPUTE_PGM_RSRC2:TGID_Y_EN: 0
; COMPUTE_PGM_RSRC2:TGID_Z_EN: 0
; COMPUTE_PGM_RSRC2:TIDIG_COMP_CNT: 0
	.section	.text._Z6kernelI6reduceILN6hipcub20BlockReduceAlgorithmE2EEdLj256ELj11ELj100EEvPKT0_PS4_,"axG",@progbits,_Z6kernelI6reduceILN6hipcub20BlockReduceAlgorithmE2EEdLj256ELj11ELj100EEvPKT0_PS4_,comdat
	.protected	_Z6kernelI6reduceILN6hipcub20BlockReduceAlgorithmE2EEdLj256ELj11ELj100EEvPKT0_PS4_ ; -- Begin function _Z6kernelI6reduceILN6hipcub20BlockReduceAlgorithmE2EEdLj256ELj11ELj100EEvPKT0_PS4_
	.globl	_Z6kernelI6reduceILN6hipcub20BlockReduceAlgorithmE2EEdLj256ELj11ELj100EEvPKT0_PS4_
	.p2align	8
	.type	_Z6kernelI6reduceILN6hipcub20BlockReduceAlgorithmE2EEdLj256ELj11ELj100EEvPKT0_PS4_,@function
_Z6kernelI6reduceILN6hipcub20BlockReduceAlgorithmE2EEdLj256ELj11ELj100EEvPKT0_PS4_: ; @_Z6kernelI6reduceILN6hipcub20BlockReduceAlgorithmE2EEdLj256ELj11ELj100EEvPKT0_PS4_
; %bb.0:
	s_load_b32 s2, s[0:1], 0x1c
	s_mov_b32 s4, s15
	s_waitcnt lgkmcnt(0)
	s_and_b32 s2, s2, 0xffff
	s_delay_alu instid0(SALU_CYCLE_1) | instskip(SKIP_1) | instid1(VALU_DEP_1)
	v_mad_u64_u32 v[1:2], null, s4, s2, v[0:1]
	s_load_b128 s[0:3], s[0:1], 0x0
	v_mul_lo_u32 v7, v1, 11
	s_delay_alu instid0(VALU_DEP_1) | instskip(NEXT) | instid1(VALU_DEP_1)
	v_dual_mov_b32 v8, 0 :: v_dual_add_nc_u32 v1, 1, v7
	v_dual_mov_b32 v2, v8 :: v_dual_add_nc_u32 v3, 2, v7
	v_lshlrev_b64 v[17:18], 3, v[7:8]
	v_dual_mov_b32 v4, v8 :: v_dual_add_nc_u32 v5, 3, v7
	s_delay_alu instid0(VALU_DEP_3) | instskip(SKIP_1) | instid1(VALU_DEP_3)
	v_lshlrev_b64 v[1:2], 3, v[1:2]
	v_dual_mov_b32 v6, v8 :: v_dual_add_nc_u32 v9, 4, v7
	v_lshlrev_b64 v[3:4], 3, v[3:4]
	s_waitcnt lgkmcnt(0)
	v_add_co_u32 v17, vcc_lo, s0, v17
	v_dual_mov_b32 v10, v8 :: v_dual_add_nc_u32 v11, 5, v7
	v_add_co_ci_u32_e32 v18, vcc_lo, s1, v18, vcc_lo
	v_lshlrev_b64 v[5:6], 3, v[5:6]
	v_add_co_u32 v1, vcc_lo, s0, v1
	v_dual_mov_b32 v12, v8 :: v_dual_add_nc_u32 v13, 6, v7
	v_add_co_ci_u32_e32 v2, vcc_lo, s1, v2, vcc_lo
	v_lshlrev_b64 v[9:10], 3, v[9:10]
	;; [unrolled: 4-line block ×3, first 2 shown]
	v_add_co_u32 v5, vcc_lo, s0, v5
	v_mov_b32_e32 v16, v8
	v_add_co_ci_u32_e32 v6, vcc_lo, s1, v6, vcc_lo
	v_lshlrev_b64 v[13:14], 3, v[13:14]
	v_add_co_u32 v9, vcc_lo, s0, v9
	s_clause 0x3
	global_load_b64 v[21:22], v[17:18], off
	global_load_b64 v[1:2], v[1:2], off
	;; [unrolled: 1-line block ×4, first 2 shown]
	v_dual_mov_b32 v18, v8 :: v_dual_add_nc_u32 v17, 8, v7
	v_add_nc_u32_e32 v19, 9, v7
	v_add_co_ci_u32_e32 v10, vcc_lo, s1, v10, vcc_lo
	v_add_co_u32 v11, vcc_lo, s0, v11
	v_lshlrev_b64 v[15:16], 3, v[15:16]
	v_dual_mov_b32 v20, v8 :: v_dual_add_nc_u32 v7, 10, v7
	v_add_co_ci_u32_e32 v12, vcc_lo, s1, v12, vcc_lo
	v_add_co_u32 v13, vcc_lo, s0, v13
	v_lshlrev_b64 v[17:18], 3, v[17:18]
	v_add_co_ci_u32_e32 v14, vcc_lo, s1, v14, vcc_lo
	v_add_co_u32 v15, vcc_lo, s0, v15
	v_lshlrev_b64 v[19:20], 3, v[19:20]
	;; [unrolled: 3-line block ×3, first 2 shown]
	v_add_co_ci_u32_e32 v18, vcc_lo, s1, v18, vcc_lo
	v_add_co_u32 v19, vcc_lo, s0, v19
	v_add_co_ci_u32_e32 v20, vcc_lo, s1, v20, vcc_lo
	s_delay_alu instid0(VALU_DEP_4)
	v_add_co_u32 v23, vcc_lo, s0, v7
	v_add_co_ci_u32_e32 v24, vcc_lo, s1, v8, vcc_lo
	s_clause 0x6
	global_load_b64 v[7:8], v[9:10], off
	global_load_b64 v[9:10], v[11:12], off
	;; [unrolled: 1-line block ×7, first 2 shown]
	v_dual_mov_b32 v24, 0x7c :: v_dual_lshlrev_b32 v23, 2, v0
	s_movk_i32 s0, 0x64
	s_delay_alu instid0(VALU_DEP_1)
	v_add_nc_u32_e32 v25, 0x80, v23
	v_add_nc_u32_e32 v26, 0x400, v23
.LBB194_1:                              ; =>This Inner Loop Header: Depth=1
	s_waitcnt vmcnt(9) lgkmcnt(0)
	v_add_f64 v[21:22], v[1:2], v[21:22]
	s_waitcnt vmcnt(0)
	s_barrier
	buffer_gl0_inv
	ds_load_2addr_b32 v[27:28], v23 offset0:32 offset1:64
	ds_load_2addr_stride64_b32 v[29:30], v25 offset0:3 offset1:4
	s_add_i32 s0, s0, -1
	s_delay_alu instid0(SALU_CYCLE_1) | instskip(SKIP_3) | instid1(VALU_DEP_1)
	s_cmp_eq_u32 s0, 0
	s_waitcnt lgkmcnt(0)
	v_dual_mov_b32 v31, v27 :: v_dual_mov_b32 v32, v30
	v_add_f64 v[21:22], v[3:4], v[21:22]
	v_add_f64 v[21:22], v[5:6], v[21:22]
	s_delay_alu instid0(VALU_DEP_1) | instskip(NEXT) | instid1(VALU_DEP_1)
	v_add_f64 v[21:22], v[7:8], v[21:22]
	v_add_f64 v[21:22], v[9:10], v[21:22]
	s_delay_alu instid0(VALU_DEP_1) | instskip(NEXT) | instid1(VALU_DEP_1)
	;; [unrolled: 3-line block ×4, first 2 shown]
	v_add_f64 v[21:22], v[19:20], v[21:22]
	v_add_f64 v[21:22], v[21:22], v[31:32]
	ds_load_2addr_b32 v[30:31], v26 offset0:64 offset1:96
	s_waitcnt lgkmcnt(0)
	v_dual_mov_b32 v27, v28 :: v_dual_mov_b32 v28, v30
	s_delay_alu instid0(VALU_DEP_1) | instskip(SKIP_3) | instid1(VALU_DEP_1)
	v_add_f64 v[21:22], v[21:22], v[27:28]
	ds_load_2addr_b32 v[27:28], v23 offset0:96 offset1:128
	s_waitcnt lgkmcnt(0)
	v_dual_mov_b32 v30, v27 :: v_dual_mov_b32 v27, v28
	v_add_f64 v[21:22], v[21:22], v[30:31]
	ds_load_2addr_b32 v[30:31], v26 offset0:128 offset1:160
	s_waitcnt lgkmcnt(0)
	v_mov_b32_e32 v28, v30
	s_delay_alu instid0(VALU_DEP_1) | instskip(SKIP_3) | instid1(VALU_DEP_1)
	v_add_f64 v[21:22], v[21:22], v[27:28]
	ds_load_2addr_b32 v[27:28], v23 offset0:160 offset1:192
	s_waitcnt lgkmcnt(0)
	v_dual_mov_b32 v30, v27 :: v_dual_mov_b32 v27, v28
	v_add_f64 v[21:22], v[21:22], v[30:31]
	ds_load_2addr_b32 v[30:31], v26 offset0:192 offset1:224
	s_waitcnt lgkmcnt(0)
	v_mov_b32_e32 v28, v30
	v_mov_b32_e32 v30, v31
	s_delay_alu instid0(VALU_DEP_2) | instskip(NEXT) | instid1(VALU_DEP_1)
	v_add_f64 v[21:22], v[21:22], v[27:28]
	v_add_f64 v[21:22], v[21:22], v[29:30]
	s_delay_alu instid0(VALU_DEP_1) | instskip(NEXT) | instid1(VALU_DEP_2)
	v_mov_b32_dpp v27, v21 quad_perm:[1,0,3,2] row_mask:0xf bank_mask:0xf
	v_mov_b32_dpp v28, v22 quad_perm:[1,0,3,2] row_mask:0xf bank_mask:0xf
	s_delay_alu instid0(VALU_DEP_1) | instskip(NEXT) | instid1(VALU_DEP_1)
	v_add_f64 v[21:22], v[21:22], v[27:28]
	v_mov_b32_dpp v27, v21 quad_perm:[2,3,0,1] row_mask:0xf bank_mask:0xf
	s_delay_alu instid0(VALU_DEP_2) | instskip(NEXT) | instid1(VALU_DEP_1)
	v_mov_b32_dpp v28, v22 quad_perm:[2,3,0,1] row_mask:0xf bank_mask:0xf
	v_add_f64 v[21:22], v[21:22], v[27:28]
	s_delay_alu instid0(VALU_DEP_1) | instskip(NEXT) | instid1(VALU_DEP_2)
	v_mov_b32_dpp v27, v21 row_ror:4 row_mask:0xf bank_mask:0xf
	v_mov_b32_dpp v28, v22 row_ror:4 row_mask:0xf bank_mask:0xf
	s_delay_alu instid0(VALU_DEP_1) | instskip(NEXT) | instid1(VALU_DEP_1)
	v_add_f64 v[21:22], v[21:22], v[27:28]
	v_mov_b32_dpp v27, v21 row_ror:8 row_mask:0xf bank_mask:0xf
	s_delay_alu instid0(VALU_DEP_2) | instskip(NEXT) | instid1(VALU_DEP_1)
	v_mov_b32_dpp v28, v22 row_ror:8 row_mask:0xf bank_mask:0xf
	v_add_f64 v[21:22], v[21:22], v[27:28]
	ds_swizzle_b32 v27, v21 offset:swizzle(BROADCAST,32,15)
	ds_swizzle_b32 v28, v22 offset:swizzle(BROADCAST,32,15)
	s_waitcnt lgkmcnt(0)
	v_add_f64 v[21:22], v[21:22], v[27:28]
	ds_bpermute_b32 v21, v24, v21
	ds_bpermute_b32 v22, v24, v22
	s_cbranch_scc0 .LBB194_1
; %bb.2:
	s_mov_b32 s5, 0
	s_mov_b32 s0, exec_lo
	v_cmpx_eq_u32_e32 0, v0
	s_cbranch_execz .LBB194_4
; %bb.3:
	s_lshl_b64 s[0:1], s[4:5], 3
	v_mov_b32_e32 v0, 0
	s_add_u32 s0, s2, s0
	s_addc_u32 s1, s3, s1
	s_waitcnt lgkmcnt(0)
	global_store_b64 v0, v[21:22], s[0:1]
.LBB194_4:
	s_nop 0
	s_sendmsg sendmsg(MSG_DEALLOC_VGPRS)
	s_endpgm
	.section	.rodata,"a",@progbits
	.p2align	6, 0x0
	.amdhsa_kernel _Z6kernelI6reduceILN6hipcub20BlockReduceAlgorithmE2EEdLj256ELj11ELj100EEvPKT0_PS4_
		.amdhsa_group_segment_fixed_size 2048
		.amdhsa_private_segment_fixed_size 0
		.amdhsa_kernarg_size 272
		.amdhsa_user_sgpr_count 15
		.amdhsa_user_sgpr_dispatch_ptr 0
		.amdhsa_user_sgpr_queue_ptr 0
		.amdhsa_user_sgpr_kernarg_segment_ptr 1
		.amdhsa_user_sgpr_dispatch_id 0
		.amdhsa_user_sgpr_private_segment_size 0
		.amdhsa_wavefront_size32 1
		.amdhsa_uses_dynamic_stack 0
		.amdhsa_enable_private_segment 0
		.amdhsa_system_sgpr_workgroup_id_x 1
		.amdhsa_system_sgpr_workgroup_id_y 0
		.amdhsa_system_sgpr_workgroup_id_z 0
		.amdhsa_system_sgpr_workgroup_info 0
		.amdhsa_system_vgpr_workitem_id 0
		.amdhsa_next_free_vgpr 33
		.amdhsa_next_free_sgpr 16
		.amdhsa_reserve_vcc 1
		.amdhsa_float_round_mode_32 0
		.amdhsa_float_round_mode_16_64 0
		.amdhsa_float_denorm_mode_32 3
		.amdhsa_float_denorm_mode_16_64 3
		.amdhsa_dx10_clamp 1
		.amdhsa_ieee_mode 1
		.amdhsa_fp16_overflow 0
		.amdhsa_workgroup_processor_mode 1
		.amdhsa_memory_ordered 1
		.amdhsa_forward_progress 0
		.amdhsa_shared_vgpr_count 0
		.amdhsa_exception_fp_ieee_invalid_op 0
		.amdhsa_exception_fp_denorm_src 0
		.amdhsa_exception_fp_ieee_div_zero 0
		.amdhsa_exception_fp_ieee_overflow 0
		.amdhsa_exception_fp_ieee_underflow 0
		.amdhsa_exception_fp_ieee_inexact 0
		.amdhsa_exception_int_div_zero 0
	.end_amdhsa_kernel
	.section	.text._Z6kernelI6reduceILN6hipcub20BlockReduceAlgorithmE2EEdLj256ELj11ELj100EEvPKT0_PS4_,"axG",@progbits,_Z6kernelI6reduceILN6hipcub20BlockReduceAlgorithmE2EEdLj256ELj11ELj100EEvPKT0_PS4_,comdat
.Lfunc_end194:
	.size	_Z6kernelI6reduceILN6hipcub20BlockReduceAlgorithmE2EEdLj256ELj11ELj100EEvPKT0_PS4_, .Lfunc_end194-_Z6kernelI6reduceILN6hipcub20BlockReduceAlgorithmE2EEdLj256ELj11ELj100EEvPKT0_PS4_
                                        ; -- End function
	.section	.AMDGPU.csdata,"",@progbits
; Kernel info:
; codeLenInByte = 1044
; NumSgprs: 18
; NumVgprs: 33
; ScratchSize: 0
; MemoryBound: 0
; FloatMode: 240
; IeeeMode: 1
; LDSByteSize: 2048 bytes/workgroup (compile time only)
; SGPRBlocks: 2
; VGPRBlocks: 4
; NumSGPRsForWavesPerEU: 18
; NumVGPRsForWavesPerEU: 33
; Occupancy: 16
; WaveLimiterHint : 0
; COMPUTE_PGM_RSRC2:SCRATCH_EN: 0
; COMPUTE_PGM_RSRC2:USER_SGPR: 15
; COMPUTE_PGM_RSRC2:TRAP_HANDLER: 0
; COMPUTE_PGM_RSRC2:TGID_X_EN: 1
; COMPUTE_PGM_RSRC2:TGID_Y_EN: 0
; COMPUTE_PGM_RSRC2:TGID_Z_EN: 0
; COMPUTE_PGM_RSRC2:TIDIG_COMP_CNT: 0
	.section	.text._Z6kernelI6reduceILN6hipcub20BlockReduceAlgorithmE2EEdLj256ELj16ELj100EEvPKT0_PS4_,"axG",@progbits,_Z6kernelI6reduceILN6hipcub20BlockReduceAlgorithmE2EEdLj256ELj16ELj100EEvPKT0_PS4_,comdat
	.protected	_Z6kernelI6reduceILN6hipcub20BlockReduceAlgorithmE2EEdLj256ELj16ELj100EEvPKT0_PS4_ ; -- Begin function _Z6kernelI6reduceILN6hipcub20BlockReduceAlgorithmE2EEdLj256ELj16ELj100EEvPKT0_PS4_
	.globl	_Z6kernelI6reduceILN6hipcub20BlockReduceAlgorithmE2EEdLj256ELj16ELj100EEvPKT0_PS4_
	.p2align	8
	.type	_Z6kernelI6reduceILN6hipcub20BlockReduceAlgorithmE2EEdLj256ELj16ELj100EEvPKT0_PS4_,@function
_Z6kernelI6reduceILN6hipcub20BlockReduceAlgorithmE2EEdLj256ELj16ELj100EEvPKT0_PS4_: ; @_Z6kernelI6reduceILN6hipcub20BlockReduceAlgorithmE2EEdLj256ELj16ELj100EEvPKT0_PS4_
; %bb.0:
	s_clause 0x1
	s_load_b32 s5, s[0:1], 0x1c
	s_load_b128 s[0:3], s[0:1], 0x0
	v_dual_mov_b32 v2, 0 :: v_dual_lshlrev_b32 v33, 2, v0
	v_mov_b32_e32 v34, 0x7c
	s_mov_b32 s4, s15
	s_delay_alu instid0(VALU_DEP_2) | instskip(SKIP_2) | instid1(SALU_CYCLE_1)
	v_add_nc_u32_e32 v35, 0x80, v33
	s_waitcnt lgkmcnt(0)
	s_and_b32 s5, s5, 0xffff
	s_mul_i32 s5, s15, s5
	s_delay_alu instid0(SALU_CYCLE_1) | instskip(NEXT) | instid1(VALU_DEP_1)
	v_add_lshl_u32 v1, s5, v0, 4
	v_lshlrev_b64 v[1:2], 3, v[1:2]
	s_delay_alu instid0(VALU_DEP_1) | instskip(NEXT) | instid1(VALU_DEP_2)
	v_add_co_u32 v29, vcc_lo, s0, v1
	v_add_co_ci_u32_e32 v30, vcc_lo, s1, v2, vcc_lo
	s_movk_i32 s0, 0x64
	s_clause 0x7
	global_load_b128 v[5:8], v[29:30], off offset:48
	global_load_b128 v[9:12], v[29:30], off offset:32
	;; [unrolled: 1-line block ×3, first 2 shown]
	global_load_b128 v[1:4], v[29:30], off
	global_load_b128 v[17:20], v[29:30], off offset:112
	global_load_b128 v[21:24], v[29:30], off offset:96
	;; [unrolled: 1-line block ×4, first 2 shown]
.LBB195_1:                              ; =>This Inner Loop Header: Depth=1
	s_waitcnt vmcnt(4) lgkmcnt(0)
	v_add_f64 v[1:2], v[3:4], v[1:2]
	s_waitcnt vmcnt(0)
	s_barrier
	buffer_gl0_inv
	ds_load_2addr_b32 v[36:37], v33 offset0:32 offset1:64
	ds_load_2addr_stride64_b32 v[38:39], v35 offset0:3 offset1:4
	s_add_i32 s0, s0, -1
	s_delay_alu instid0(SALU_CYCLE_1) | instskip(SKIP_4) | instid1(VALU_DEP_1)
	s_cmp_eq_u32 s0, 0
	s_waitcnt lgkmcnt(0)
	v_dual_mov_b32 v40, v36 :: v_dual_mov_b32 v41, v39
	v_mov_b32_e32 v36, v37
	v_add_f64 v[1:2], v[13:14], v[1:2]
	v_add_f64 v[1:2], v[15:16], v[1:2]
	s_delay_alu instid0(VALU_DEP_1) | instskip(NEXT) | instid1(VALU_DEP_1)
	v_add_f64 v[1:2], v[9:10], v[1:2]
	v_add_f64 v[1:2], v[11:12], v[1:2]
	s_delay_alu instid0(VALU_DEP_1) | instskip(NEXT) | instid1(VALU_DEP_1)
	;; [unrolled: 3-line block ×6, first 2 shown]
	v_add_f64 v[1:2], v[17:18], v[1:2]
	v_add_f64 v[1:2], v[19:20], v[1:2]
	s_delay_alu instid0(VALU_DEP_1) | instskip(SKIP_4) | instid1(VALU_DEP_1)
	v_add_f64 v[1:2], v[1:2], v[40:41]
	v_add_nc_u32_e32 v41, 0x400, v33
	ds_load_2addr_b32 v[39:40], v41 offset0:64 offset1:96
	s_waitcnt lgkmcnt(0)
	v_mov_b32_e32 v37, v39
	v_add_f64 v[1:2], v[1:2], v[36:37]
	ds_load_2addr_b32 v[36:37], v33 offset0:96 offset1:128
	s_waitcnt lgkmcnt(0)
	v_dual_mov_b32 v39, v36 :: v_dual_mov_b32 v36, v37
	s_delay_alu instid0(VALU_DEP_1) | instskip(SKIP_3) | instid1(VALU_DEP_1)
	v_add_f64 v[1:2], v[1:2], v[39:40]
	ds_load_2addr_b32 v[39:40], v41 offset0:128 offset1:160
	s_waitcnt lgkmcnt(0)
	v_mov_b32_e32 v37, v39
	v_add_f64 v[1:2], v[1:2], v[36:37]
	ds_load_2addr_b32 v[36:37], v33 offset0:160 offset1:192
	s_waitcnt lgkmcnt(0)
	v_dual_mov_b32 v39, v36 :: v_dual_mov_b32 v36, v37
	s_delay_alu instid0(VALU_DEP_1) | instskip(SKIP_4) | instid1(VALU_DEP_2)
	v_add_f64 v[1:2], v[1:2], v[39:40]
	ds_load_2addr_b32 v[39:40], v41 offset0:192 offset1:224
	s_waitcnt lgkmcnt(0)
	v_mov_b32_e32 v37, v39
	v_mov_b32_e32 v39, v40
	v_add_f64 v[1:2], v[1:2], v[36:37]
	s_delay_alu instid0(VALU_DEP_1) | instskip(NEXT) | instid1(VALU_DEP_1)
	v_add_f64 v[1:2], v[1:2], v[38:39]
	v_mov_b32_dpp v36, v1 quad_perm:[1,0,3,2] row_mask:0xf bank_mask:0xf
	s_delay_alu instid0(VALU_DEP_2) | instskip(NEXT) | instid1(VALU_DEP_1)
	v_mov_b32_dpp v37, v2 quad_perm:[1,0,3,2] row_mask:0xf bank_mask:0xf
	v_add_f64 v[1:2], v[1:2], v[36:37]
	s_delay_alu instid0(VALU_DEP_1) | instskip(NEXT) | instid1(VALU_DEP_2)
	v_mov_b32_dpp v36, v1 quad_perm:[2,3,0,1] row_mask:0xf bank_mask:0xf
	v_mov_b32_dpp v37, v2 quad_perm:[2,3,0,1] row_mask:0xf bank_mask:0xf
	s_delay_alu instid0(VALU_DEP_1) | instskip(NEXT) | instid1(VALU_DEP_1)
	v_add_f64 v[1:2], v[1:2], v[36:37]
	v_mov_b32_dpp v36, v1 row_ror:4 row_mask:0xf bank_mask:0xf
	s_delay_alu instid0(VALU_DEP_2) | instskip(NEXT) | instid1(VALU_DEP_1)
	v_mov_b32_dpp v37, v2 row_ror:4 row_mask:0xf bank_mask:0xf
	v_add_f64 v[1:2], v[1:2], v[36:37]
	s_delay_alu instid0(VALU_DEP_1) | instskip(NEXT) | instid1(VALU_DEP_2)
	v_mov_b32_dpp v36, v1 row_ror:8 row_mask:0xf bank_mask:0xf
	v_mov_b32_dpp v37, v2 row_ror:8 row_mask:0xf bank_mask:0xf
	s_delay_alu instid0(VALU_DEP_1)
	v_add_f64 v[1:2], v[1:2], v[36:37]
	ds_swizzle_b32 v36, v1 offset:swizzle(BROADCAST,32,15)
	ds_swizzle_b32 v37, v2 offset:swizzle(BROADCAST,32,15)
	s_waitcnt lgkmcnt(0)
	v_add_f64 v[1:2], v[1:2], v[36:37]
	ds_bpermute_b32 v1, v34, v1
	ds_bpermute_b32 v2, v34, v2
	s_cbranch_scc0 .LBB195_1
; %bb.2:
	s_mov_b32 s5, 0
	s_mov_b32 s0, exec_lo
	v_cmpx_eq_u32_e32 0, v0
	s_cbranch_execz .LBB195_4
; %bb.3:
	s_lshl_b64 s[0:1], s[4:5], 3
	v_mov_b32_e32 v0, 0
	s_add_u32 s0, s2, s0
	s_addc_u32 s1, s3, s1
	s_waitcnt lgkmcnt(0)
	global_store_b64 v0, v[1:2], s[0:1]
.LBB195_4:
	s_nop 0
	s_sendmsg sendmsg(MSG_DEALLOC_VGPRS)
	s_endpgm
	.section	.rodata,"a",@progbits
	.p2align	6, 0x0
	.amdhsa_kernel _Z6kernelI6reduceILN6hipcub20BlockReduceAlgorithmE2EEdLj256ELj16ELj100EEvPKT0_PS4_
		.amdhsa_group_segment_fixed_size 2048
		.amdhsa_private_segment_fixed_size 0
		.amdhsa_kernarg_size 272
		.amdhsa_user_sgpr_count 15
		.amdhsa_user_sgpr_dispatch_ptr 0
		.amdhsa_user_sgpr_queue_ptr 0
		.amdhsa_user_sgpr_kernarg_segment_ptr 1
		.amdhsa_user_sgpr_dispatch_id 0
		.amdhsa_user_sgpr_private_segment_size 0
		.amdhsa_wavefront_size32 1
		.amdhsa_uses_dynamic_stack 0
		.amdhsa_enable_private_segment 0
		.amdhsa_system_sgpr_workgroup_id_x 1
		.amdhsa_system_sgpr_workgroup_id_y 0
		.amdhsa_system_sgpr_workgroup_id_z 0
		.amdhsa_system_sgpr_workgroup_info 0
		.amdhsa_system_vgpr_workitem_id 0
		.amdhsa_next_free_vgpr 42
		.amdhsa_next_free_sgpr 16
		.amdhsa_reserve_vcc 1
		.amdhsa_float_round_mode_32 0
		.amdhsa_float_round_mode_16_64 0
		.amdhsa_float_denorm_mode_32 3
		.amdhsa_float_denorm_mode_16_64 3
		.amdhsa_dx10_clamp 1
		.amdhsa_ieee_mode 1
		.amdhsa_fp16_overflow 0
		.amdhsa_workgroup_processor_mode 1
		.amdhsa_memory_ordered 1
		.amdhsa_forward_progress 0
		.amdhsa_shared_vgpr_count 0
		.amdhsa_exception_fp_ieee_invalid_op 0
		.amdhsa_exception_fp_denorm_src 0
		.amdhsa_exception_fp_ieee_div_zero 0
		.amdhsa_exception_fp_ieee_overflow 0
		.amdhsa_exception_fp_ieee_underflow 0
		.amdhsa_exception_fp_ieee_inexact 0
		.amdhsa_exception_int_div_zero 0
	.end_amdhsa_kernel
	.section	.text._Z6kernelI6reduceILN6hipcub20BlockReduceAlgorithmE2EEdLj256ELj16ELj100EEvPKT0_PS4_,"axG",@progbits,_Z6kernelI6reduceILN6hipcub20BlockReduceAlgorithmE2EEdLj256ELj16ELj100EEvPKT0_PS4_,comdat
.Lfunc_end195:
	.size	_Z6kernelI6reduceILN6hipcub20BlockReduceAlgorithmE2EEdLj256ELj16ELj100EEvPKT0_PS4_, .Lfunc_end195-_Z6kernelI6reduceILN6hipcub20BlockReduceAlgorithmE2EEdLj256ELj16ELj100EEvPKT0_PS4_
                                        ; -- End function
	.section	.AMDGPU.csdata,"",@progbits
; Kernel info:
; codeLenInByte = 780
; NumSgprs: 18
; NumVgprs: 42
; ScratchSize: 0
; MemoryBound: 1
; FloatMode: 240
; IeeeMode: 1
; LDSByteSize: 2048 bytes/workgroup (compile time only)
; SGPRBlocks: 2
; VGPRBlocks: 5
; NumSGPRsForWavesPerEU: 18
; NumVGPRsForWavesPerEU: 42
; Occupancy: 16
; WaveLimiterHint : 0
; COMPUTE_PGM_RSRC2:SCRATCH_EN: 0
; COMPUTE_PGM_RSRC2:USER_SGPR: 15
; COMPUTE_PGM_RSRC2:TRAP_HANDLER: 0
; COMPUTE_PGM_RSRC2:TGID_X_EN: 1
; COMPUTE_PGM_RSRC2:TGID_Y_EN: 0
; COMPUTE_PGM_RSRC2:TGID_Z_EN: 0
; COMPUTE_PGM_RSRC2:TIDIG_COMP_CNT: 0
	.section	.text._Z6kernelI6reduceILN6hipcub20BlockReduceAlgorithmE2EEaLj256ELj1ELj100EEvPKT0_PS4_,"axG",@progbits,_Z6kernelI6reduceILN6hipcub20BlockReduceAlgorithmE2EEaLj256ELj1ELj100EEvPKT0_PS4_,comdat
	.protected	_Z6kernelI6reduceILN6hipcub20BlockReduceAlgorithmE2EEaLj256ELj1ELj100EEvPKT0_PS4_ ; -- Begin function _Z6kernelI6reduceILN6hipcub20BlockReduceAlgorithmE2EEaLj256ELj1ELj100EEvPKT0_PS4_
	.globl	_Z6kernelI6reduceILN6hipcub20BlockReduceAlgorithmE2EEaLj256ELj1ELj100EEvPKT0_PS4_
	.p2align	8
	.type	_Z6kernelI6reduceILN6hipcub20BlockReduceAlgorithmE2EEaLj256ELj1ELj100EEvPKT0_PS4_,@function
_Z6kernelI6reduceILN6hipcub20BlockReduceAlgorithmE2EEaLj256ELj1ELj100EEvPKT0_PS4_: ; @_Z6kernelI6reduceILN6hipcub20BlockReduceAlgorithmE2EEaLj256ELj1ELj100EEvPKT0_PS4_
; %bb.0:
	s_clause 0x1
	s_load_b32 s4, s[0:1], 0x1c
	s_load_b128 s[0:3], s[0:1], 0x0
	s_waitcnt lgkmcnt(0)
	s_and_b32 s4, s4, 0xffff
	s_delay_alu instid0(SALU_CYCLE_1)
	v_mad_u64_u32 v[1:2], null, s15, s4, v[0:1]
	global_load_u8 v2, v1, s[0:1]
	v_mov_b32_e32 v1, 0x7c
	s_movk_i32 s0, 0x64
.LBB196_1:                              ; =>This Inner Loop Header: Depth=1
	s_waitcnt vmcnt(0) lgkmcnt(0)
	s_barrier
	buffer_gl0_inv
	ds_load_u8 v3, v0 offset:32
	ds_load_u8 v4, v0 offset:64
	ds_load_u8 v5, v0 offset:96
	ds_load_u8 v6, v0 offset:128
	ds_load_u8 v7, v0 offset:160
	ds_load_u8 v8, v0 offset:192
	ds_load_u8 v9, v0 offset:224
	s_add_i32 s0, s0, -1
	s_delay_alu instid0(SALU_CYCLE_1) | instskip(SKIP_3) | instid1(VALU_DEP_1)
	s_cmp_eq_u32 s0, 0
	s_waitcnt lgkmcnt(6)
	v_add_nc_u16 v2, v3, v2
	s_waitcnt lgkmcnt(5)
	v_add_nc_u16 v2, v2, v4
	s_waitcnt lgkmcnt(4)
	s_delay_alu instid0(VALU_DEP_1) | instskip(SKIP_1) | instid1(VALU_DEP_1)
	v_add_nc_u16 v2, v2, v5
	s_waitcnt lgkmcnt(3)
	v_add_nc_u16 v2, v2, v6
	s_waitcnt lgkmcnt(2)
	s_delay_alu instid0(VALU_DEP_1) | instskip(SKIP_1) | instid1(VALU_DEP_1)
	v_add_nc_u16 v2, v2, v7
	s_waitcnt lgkmcnt(1)
	v_add_nc_u16 v2, v2, v8
	s_waitcnt lgkmcnt(0)
	s_delay_alu instid0(VALU_DEP_1) | instskip(NEXT) | instid1(VALU_DEP_1)
	v_add_nc_u16 v2, v2, v9
	v_and_b32_e32 v3, 0xff, v2
	s_delay_alu instid0(VALU_DEP_1) | instskip(NEXT) | instid1(VALU_DEP_1)
	v_mov_b32_dpp v3, v3 quad_perm:[1,0,3,2] row_mask:0xf bank_mask:0xf
	v_add_nc_u16 v2, v2, v3
	s_delay_alu instid0(VALU_DEP_1) | instskip(NEXT) | instid1(VALU_DEP_1)
	v_and_b32_e32 v3, 0xff, v2
	v_mov_b32_dpp v3, v3 quad_perm:[2,3,0,1] row_mask:0xf bank_mask:0xf
	s_delay_alu instid0(VALU_DEP_1) | instskip(NEXT) | instid1(VALU_DEP_1)
	v_add_nc_u16 v2, v2, v3
	v_and_b32_e32 v3, 0xff, v2
	s_delay_alu instid0(VALU_DEP_1) | instskip(NEXT) | instid1(VALU_DEP_1)
	v_mov_b32_dpp v3, v3 row_ror:4 row_mask:0xf bank_mask:0xf
	v_add_nc_u16 v2, v2, v3
	s_delay_alu instid0(VALU_DEP_1) | instskip(NEXT) | instid1(VALU_DEP_1)
	v_and_b32_e32 v3, 0xff, v2
	v_mov_b32_dpp v3, v3 row_ror:8 row_mask:0xf bank_mask:0xf
	s_delay_alu instid0(VALU_DEP_1) | instskip(NEXT) | instid1(VALU_DEP_1)
	v_add_nc_u16 v2, v2, v3
	v_and_b32_e32 v3, 0xff, v2
	ds_swizzle_b32 v3, v3 offset:swizzle(BROADCAST,32,15)
	s_waitcnt lgkmcnt(0)
	v_add_nc_u16 v2, v2, v3
	s_delay_alu instid0(VALU_DEP_1)
	v_and_b32_e32 v2, 0xff, v2
	ds_bpermute_b32 v2, v1, v2
	s_cbranch_scc0 .LBB196_1
; %bb.2:
	s_mov_b32 s0, exec_lo
	v_cmpx_eq_u32_e32 0, v0
	s_cbranch_execz .LBB196_4
; %bb.3:
	v_mov_b32_e32 v0, s15
	s_waitcnt lgkmcnt(0)
	global_store_b8 v0, v2, s[2:3]
.LBB196_4:
	s_nop 0
	s_sendmsg sendmsg(MSG_DEALLOC_VGPRS)
	s_endpgm
	.section	.rodata,"a",@progbits
	.p2align	6, 0x0
	.amdhsa_kernel _Z6kernelI6reduceILN6hipcub20BlockReduceAlgorithmE2EEaLj256ELj1ELj100EEvPKT0_PS4_
		.amdhsa_group_segment_fixed_size 256
		.amdhsa_private_segment_fixed_size 0
		.amdhsa_kernarg_size 272
		.amdhsa_user_sgpr_count 15
		.amdhsa_user_sgpr_dispatch_ptr 0
		.amdhsa_user_sgpr_queue_ptr 0
		.amdhsa_user_sgpr_kernarg_segment_ptr 1
		.amdhsa_user_sgpr_dispatch_id 0
		.amdhsa_user_sgpr_private_segment_size 0
		.amdhsa_wavefront_size32 1
		.amdhsa_uses_dynamic_stack 0
		.amdhsa_enable_private_segment 0
		.amdhsa_system_sgpr_workgroup_id_x 1
		.amdhsa_system_sgpr_workgroup_id_y 0
		.amdhsa_system_sgpr_workgroup_id_z 0
		.amdhsa_system_sgpr_workgroup_info 0
		.amdhsa_system_vgpr_workitem_id 0
		.amdhsa_next_free_vgpr 10
		.amdhsa_next_free_sgpr 16
		.amdhsa_reserve_vcc 0
		.amdhsa_float_round_mode_32 0
		.amdhsa_float_round_mode_16_64 0
		.amdhsa_float_denorm_mode_32 3
		.amdhsa_float_denorm_mode_16_64 3
		.amdhsa_dx10_clamp 1
		.amdhsa_ieee_mode 1
		.amdhsa_fp16_overflow 0
		.amdhsa_workgroup_processor_mode 1
		.amdhsa_memory_ordered 1
		.amdhsa_forward_progress 0
		.amdhsa_shared_vgpr_count 0
		.amdhsa_exception_fp_ieee_invalid_op 0
		.amdhsa_exception_fp_denorm_src 0
		.amdhsa_exception_fp_ieee_div_zero 0
		.amdhsa_exception_fp_ieee_overflow 0
		.amdhsa_exception_fp_ieee_underflow 0
		.amdhsa_exception_fp_ieee_inexact 0
		.amdhsa_exception_int_div_zero 0
	.end_amdhsa_kernel
	.section	.text._Z6kernelI6reduceILN6hipcub20BlockReduceAlgorithmE2EEaLj256ELj1ELj100EEvPKT0_PS4_,"axG",@progbits,_Z6kernelI6reduceILN6hipcub20BlockReduceAlgorithmE2EEaLj256ELj1ELj100EEvPKT0_PS4_,comdat
.Lfunc_end196:
	.size	_Z6kernelI6reduceILN6hipcub20BlockReduceAlgorithmE2EEaLj256ELj1ELj100EEvPKT0_PS4_, .Lfunc_end196-_Z6kernelI6reduceILN6hipcub20BlockReduceAlgorithmE2EEaLj256ELj1ELj100EEvPKT0_PS4_
                                        ; -- End function
	.section	.AMDGPU.csdata,"",@progbits
; Kernel info:
; codeLenInByte = 456
; NumSgprs: 16
; NumVgprs: 10
; ScratchSize: 0
; MemoryBound: 0
; FloatMode: 240
; IeeeMode: 1
; LDSByteSize: 256 bytes/workgroup (compile time only)
; SGPRBlocks: 1
; VGPRBlocks: 1
; NumSGPRsForWavesPerEU: 16
; NumVGPRsForWavesPerEU: 10
; Occupancy: 16
; WaveLimiterHint : 0
; COMPUTE_PGM_RSRC2:SCRATCH_EN: 0
; COMPUTE_PGM_RSRC2:USER_SGPR: 15
; COMPUTE_PGM_RSRC2:TRAP_HANDLER: 0
; COMPUTE_PGM_RSRC2:TGID_X_EN: 1
; COMPUTE_PGM_RSRC2:TGID_Y_EN: 0
; COMPUTE_PGM_RSRC2:TGID_Z_EN: 0
; COMPUTE_PGM_RSRC2:TIDIG_COMP_CNT: 0
	.section	.text._Z6kernelI6reduceILN6hipcub20BlockReduceAlgorithmE2EEaLj256ELj2ELj100EEvPKT0_PS4_,"axG",@progbits,_Z6kernelI6reduceILN6hipcub20BlockReduceAlgorithmE2EEaLj256ELj2ELj100EEvPKT0_PS4_,comdat
	.protected	_Z6kernelI6reduceILN6hipcub20BlockReduceAlgorithmE2EEaLj256ELj2ELj100EEvPKT0_PS4_ ; -- Begin function _Z6kernelI6reduceILN6hipcub20BlockReduceAlgorithmE2EEaLj256ELj2ELj100EEvPKT0_PS4_
	.globl	_Z6kernelI6reduceILN6hipcub20BlockReduceAlgorithmE2EEaLj256ELj2ELj100EEvPKT0_PS4_
	.p2align	8
	.type	_Z6kernelI6reduceILN6hipcub20BlockReduceAlgorithmE2EEaLj256ELj2ELj100EEvPKT0_PS4_,@function
_Z6kernelI6reduceILN6hipcub20BlockReduceAlgorithmE2EEaLj256ELj2ELj100EEvPKT0_PS4_: ; @_Z6kernelI6reduceILN6hipcub20BlockReduceAlgorithmE2EEaLj256ELj2ELj100EEvPKT0_PS4_
; %bb.0:
	s_clause 0x1
	s_load_b32 s4, s[0:1], 0x1c
	s_load_b128 s[0:3], s[0:1], 0x0
	s_waitcnt lgkmcnt(0)
	s_and_b32 s4, s4, 0xffff
	s_delay_alu instid0(SALU_CYCLE_1) | instskip(NEXT) | instid1(SALU_CYCLE_1)
	s_mul_i32 s4, s15, s4
	v_add_lshl_u32 v1, s4, v0, 1
	global_load_u16 v2, v1, s[0:1]
	v_mov_b32_e32 v1, 0x7c
	s_movk_i32 s0, 0x64
.LBB197_1:                              ; =>This Inner Loop Header: Depth=1
	s_waitcnt vmcnt(0)
	s_barrier
	buffer_gl0_inv
	ds_load_u8 v3, v0 offset:32
	ds_load_u8 v4, v0 offset:64
	v_lshrrev_b16 v5, 8, v2
	ds_load_u8 v6, v0 offset:96
	ds_load_u8 v7, v0 offset:128
	;; [unrolled: 1-line block ×5, first 2 shown]
	s_add_i32 s0, s0, -1
	v_add_nc_u16 v5, v5, v2
	v_and_b32_e32 v2, 0xffffff00, v2
	s_cmp_eq_u32 s0, 0
	s_waitcnt lgkmcnt(6)
	s_delay_alu instid0(VALU_DEP_2) | instskip(SKIP_1) | instid1(VALU_DEP_1)
	v_add_nc_u16 v3, v5, v3
	s_waitcnt lgkmcnt(5)
	v_add_nc_u16 v3, v3, v4
	s_waitcnt lgkmcnt(4)
	s_delay_alu instid0(VALU_DEP_1) | instskip(SKIP_1) | instid1(VALU_DEP_1)
	v_add_nc_u16 v3, v3, v6
	s_waitcnt lgkmcnt(3)
	v_add_nc_u16 v3, v3, v7
	s_waitcnt lgkmcnt(2)
	s_delay_alu instid0(VALU_DEP_1) | instskip(SKIP_1) | instid1(VALU_DEP_1)
	v_add_nc_u16 v3, v3, v8
	s_waitcnt lgkmcnt(1)
	v_add_nc_u16 v3, v3, v9
	s_waitcnt lgkmcnt(0)
	s_delay_alu instid0(VALU_DEP_1) | instskip(NEXT) | instid1(VALU_DEP_1)
	v_add_nc_u16 v3, v3, v10
	v_and_b32_e32 v4, 0xff, v3
	s_delay_alu instid0(VALU_DEP_1) | instskip(NEXT) | instid1(VALU_DEP_1)
	v_mov_b32_dpp v4, v4 quad_perm:[1,0,3,2] row_mask:0xf bank_mask:0xf
	v_add_nc_u16 v3, v3, v4
	s_delay_alu instid0(VALU_DEP_1) | instskip(NEXT) | instid1(VALU_DEP_1)
	v_and_b32_e32 v4, 0xff, v3
	v_mov_b32_dpp v4, v4 quad_perm:[2,3,0,1] row_mask:0xf bank_mask:0xf
	s_delay_alu instid0(VALU_DEP_1) | instskip(NEXT) | instid1(VALU_DEP_1)
	v_add_nc_u16 v3, v3, v4
	v_and_b32_e32 v4, 0xff, v3
	s_delay_alu instid0(VALU_DEP_1) | instskip(NEXT) | instid1(VALU_DEP_1)
	v_mov_b32_dpp v4, v4 row_ror:4 row_mask:0xf bank_mask:0xf
	v_add_nc_u16 v3, v3, v4
	s_delay_alu instid0(VALU_DEP_1) | instskip(NEXT) | instid1(VALU_DEP_1)
	v_and_b32_e32 v4, 0xff, v3
	v_mov_b32_dpp v4, v4 row_ror:8 row_mask:0xf bank_mask:0xf
	s_delay_alu instid0(VALU_DEP_1) | instskip(NEXT) | instid1(VALU_DEP_1)
	v_add_nc_u16 v3, v3, v4
	v_and_b32_e32 v4, 0xff, v3
	ds_swizzle_b32 v4, v4 offset:swizzle(BROADCAST,32,15)
	s_waitcnt lgkmcnt(0)
	v_add_nc_u16 v3, v3, v4
	s_delay_alu instid0(VALU_DEP_1) | instskip(SKIP_3) | instid1(VALU_DEP_1)
	v_and_b32_e32 v3, 0xff, v3
	ds_bpermute_b32 v3, v1, v3
	s_waitcnt lgkmcnt(0)
	v_and_b32_e32 v4, 0xff, v3
	v_or_b32_e32 v2, v4, v2
	s_delay_alu instid0(VALU_DEP_1)
	v_and_b32_e32 v2, 0xffff, v2
	s_cbranch_scc0 .LBB197_1
; %bb.2:
	s_mov_b32 s0, exec_lo
	v_cmpx_eq_u32_e32 0, v0
	s_cbranch_execz .LBB197_4
; %bb.3:
	v_mov_b32_e32 v0, s15
	global_store_b8 v0, v3, s[2:3]
.LBB197_4:
	s_nop 0
	s_sendmsg sendmsg(MSG_DEALLOC_VGPRS)
	s_endpgm
	.section	.rodata,"a",@progbits
	.p2align	6, 0x0
	.amdhsa_kernel _Z6kernelI6reduceILN6hipcub20BlockReduceAlgorithmE2EEaLj256ELj2ELj100EEvPKT0_PS4_
		.amdhsa_group_segment_fixed_size 256
		.amdhsa_private_segment_fixed_size 0
		.amdhsa_kernarg_size 272
		.amdhsa_user_sgpr_count 15
		.amdhsa_user_sgpr_dispatch_ptr 0
		.amdhsa_user_sgpr_queue_ptr 0
		.amdhsa_user_sgpr_kernarg_segment_ptr 1
		.amdhsa_user_sgpr_dispatch_id 0
		.amdhsa_user_sgpr_private_segment_size 0
		.amdhsa_wavefront_size32 1
		.amdhsa_uses_dynamic_stack 0
		.amdhsa_enable_private_segment 0
		.amdhsa_system_sgpr_workgroup_id_x 1
		.amdhsa_system_sgpr_workgroup_id_y 0
		.amdhsa_system_sgpr_workgroup_id_z 0
		.amdhsa_system_sgpr_workgroup_info 0
		.amdhsa_system_vgpr_workitem_id 0
		.amdhsa_next_free_vgpr 11
		.amdhsa_next_free_sgpr 16
		.amdhsa_reserve_vcc 0
		.amdhsa_float_round_mode_32 0
		.amdhsa_float_round_mode_16_64 0
		.amdhsa_float_denorm_mode_32 3
		.amdhsa_float_denorm_mode_16_64 3
		.amdhsa_dx10_clamp 1
		.amdhsa_ieee_mode 1
		.amdhsa_fp16_overflow 0
		.amdhsa_workgroup_processor_mode 1
		.amdhsa_memory_ordered 1
		.amdhsa_forward_progress 0
		.amdhsa_shared_vgpr_count 0
		.amdhsa_exception_fp_ieee_invalid_op 0
		.amdhsa_exception_fp_denorm_src 0
		.amdhsa_exception_fp_ieee_div_zero 0
		.amdhsa_exception_fp_ieee_overflow 0
		.amdhsa_exception_fp_ieee_underflow 0
		.amdhsa_exception_fp_ieee_inexact 0
		.amdhsa_exception_int_div_zero 0
	.end_amdhsa_kernel
	.section	.text._Z6kernelI6reduceILN6hipcub20BlockReduceAlgorithmE2EEaLj256ELj2ELj100EEvPKT0_PS4_,"axG",@progbits,_Z6kernelI6reduceILN6hipcub20BlockReduceAlgorithmE2EEaLj256ELj2ELj100EEvPKT0_PS4_,comdat
.Lfunc_end197:
	.size	_Z6kernelI6reduceILN6hipcub20BlockReduceAlgorithmE2EEaLj256ELj2ELj100EEvPKT0_PS4_, .Lfunc_end197-_Z6kernelI6reduceILN6hipcub20BlockReduceAlgorithmE2EEaLj256ELj2ELj100EEvPKT0_PS4_
                                        ; -- End function
	.section	.AMDGPU.csdata,"",@progbits
; Kernel info:
; codeLenInByte = 508
; NumSgprs: 16
; NumVgprs: 11
; ScratchSize: 0
; MemoryBound: 0
; FloatMode: 240
; IeeeMode: 1
; LDSByteSize: 256 bytes/workgroup (compile time only)
; SGPRBlocks: 1
; VGPRBlocks: 1
; NumSGPRsForWavesPerEU: 16
; NumVGPRsForWavesPerEU: 11
; Occupancy: 16
; WaveLimiterHint : 0
; COMPUTE_PGM_RSRC2:SCRATCH_EN: 0
; COMPUTE_PGM_RSRC2:USER_SGPR: 15
; COMPUTE_PGM_RSRC2:TRAP_HANDLER: 0
; COMPUTE_PGM_RSRC2:TGID_X_EN: 1
; COMPUTE_PGM_RSRC2:TGID_Y_EN: 0
; COMPUTE_PGM_RSRC2:TGID_Z_EN: 0
; COMPUTE_PGM_RSRC2:TIDIG_COMP_CNT: 0
	.section	.text._Z6kernelI6reduceILN6hipcub20BlockReduceAlgorithmE2EEaLj256ELj3ELj100EEvPKT0_PS4_,"axG",@progbits,_Z6kernelI6reduceILN6hipcub20BlockReduceAlgorithmE2EEaLj256ELj3ELj100EEvPKT0_PS4_,comdat
	.protected	_Z6kernelI6reduceILN6hipcub20BlockReduceAlgorithmE2EEaLj256ELj3ELj100EEvPKT0_PS4_ ; -- Begin function _Z6kernelI6reduceILN6hipcub20BlockReduceAlgorithmE2EEaLj256ELj3ELj100EEvPKT0_PS4_
	.globl	_Z6kernelI6reduceILN6hipcub20BlockReduceAlgorithmE2EEaLj256ELj3ELj100EEvPKT0_PS4_
	.p2align	8
	.type	_Z6kernelI6reduceILN6hipcub20BlockReduceAlgorithmE2EEaLj256ELj3ELj100EEvPKT0_PS4_,@function
_Z6kernelI6reduceILN6hipcub20BlockReduceAlgorithmE2EEaLj256ELj3ELj100EEvPKT0_PS4_: ; @_Z6kernelI6reduceILN6hipcub20BlockReduceAlgorithmE2EEaLj256ELj3ELj100EEvPKT0_PS4_
; %bb.0:
	s_clause 0x1
	s_load_b32 s4, s[0:1], 0x1c
	s_load_b128 s[0:3], s[0:1], 0x0
	s_waitcnt lgkmcnt(0)
	s_and_b32 s4, s4, 0xffff
	s_delay_alu instid0(SALU_CYCLE_1) | instskip(NEXT) | instid1(VALU_DEP_1)
	v_mad_u64_u32 v[1:2], null, s15, s4, v[0:1]
	v_lshl_add_u32 v1, v1, 1, v1
	s_delay_alu instid0(VALU_DEP_1)
	v_add_nc_u32_e32 v2, 1, v1
	s_clause 0x1
	global_load_u8 v2, v2, s[0:1]
	global_load_u8 v3, v1, s[0:1]
	v_add_nc_u32_e32 v1, 2, v1
	global_load_u8 v1, v1, s[0:1]
	s_movk_i32 s0, 0x64
	s_waitcnt vmcnt(2)
	v_lshlrev_b16 v2, 8, v2
	s_waitcnt vmcnt(1)
	s_delay_alu instid0(VALU_DEP_1) | instskip(NEXT) | instid1(VALU_DEP_1)
	v_or_b32_e32 v2, v3, v2
	v_and_b32_e32 v2, 0xffff, v2
	s_waitcnt vmcnt(0)
	s_delay_alu instid0(VALU_DEP_1)
	v_lshl_or_b32 v1, v1, 16, v2
	v_mov_b32_e32 v2, 0x7c
.LBB198_1:                              ; =>This Inner Loop Header: Depth=1
	s_barrier
	buffer_gl0_inv
	ds_load_u8 v3, v0 offset:32
	ds_load_u8 v5, v0 offset:64
	ds_load_u8 v7, v0 offset:96
	ds_load_u8 v9, v0 offset:128
	v_lshrrev_b32_e32 v4, 8, v1
	v_lshrrev_b32_e32 v6, 16, v1
	s_add_i32 s0, s0, -1
	s_delay_alu instid0(SALU_CYCLE_1) | instskip(NEXT) | instid1(VALU_DEP_2)
	s_cmp_eq_u32 s0, 0
	v_add_nc_u16 v8, v4, v1
	v_lshlrev_b16 v4, 8, v4
	s_delay_alu instid0(VALU_DEP_2)
	v_add_nc_u16 v6, v8, v6
	ds_load_u8 v8, v0 offset:160
	ds_load_u8 v10, v0 offset:192
	;; [unrolled: 1-line block ×3, first 2 shown]
	s_waitcnt lgkmcnt(6)
	v_add_nc_u16 v3, v6, v3
	s_waitcnt lgkmcnt(5)
	s_delay_alu instid0(VALU_DEP_1) | instskip(SKIP_1) | instid1(VALU_DEP_1)
	v_add_nc_u16 v3, v3, v5
	s_waitcnt lgkmcnt(4)
	v_add_nc_u16 v3, v3, v7
	s_waitcnt lgkmcnt(3)
	s_delay_alu instid0(VALU_DEP_1) | instskip(SKIP_1) | instid1(VALU_DEP_1)
	v_add_nc_u16 v3, v3, v9
	;; [unrolled: 5-line block ×3, first 2 shown]
	s_waitcnt lgkmcnt(0)
	v_add_nc_u16 v3, v3, v11
	s_delay_alu instid0(VALU_DEP_1) | instskip(NEXT) | instid1(VALU_DEP_1)
	v_and_b32_e32 v5, 0xff, v3
	v_mov_b32_dpp v5, v5 quad_perm:[1,0,3,2] row_mask:0xf bank_mask:0xf
	s_delay_alu instid0(VALU_DEP_1) | instskip(NEXT) | instid1(VALU_DEP_1)
	v_add_nc_u16 v3, v3, v5
	v_and_b32_e32 v5, 0xff, v3
	s_delay_alu instid0(VALU_DEP_1) | instskip(NEXT) | instid1(VALU_DEP_1)
	v_mov_b32_dpp v5, v5 quad_perm:[2,3,0,1] row_mask:0xf bank_mask:0xf
	v_add_nc_u16 v3, v3, v5
	s_delay_alu instid0(VALU_DEP_1) | instskip(NEXT) | instid1(VALU_DEP_1)
	v_and_b32_e32 v5, 0xff, v3
	v_mov_b32_dpp v5, v5 row_ror:4 row_mask:0xf bank_mask:0xf
	s_delay_alu instid0(VALU_DEP_1) | instskip(NEXT) | instid1(VALU_DEP_1)
	v_add_nc_u16 v3, v3, v5
	v_and_b32_e32 v5, 0xff, v3
	s_delay_alu instid0(VALU_DEP_1) | instskip(NEXT) | instid1(VALU_DEP_1)
	v_mov_b32_dpp v5, v5 row_ror:8 row_mask:0xf bank_mask:0xf
	v_add_nc_u16 v3, v3, v5
	s_delay_alu instid0(VALU_DEP_1) | instskip(SKIP_3) | instid1(VALU_DEP_1)
	v_and_b32_e32 v5, 0xff, v3
	ds_swizzle_b32 v5, v5 offset:swizzle(BROADCAST,32,15)
	s_waitcnt lgkmcnt(0)
	v_add_nc_u16 v3, v3, v5
	v_and_b32_e32 v3, 0xff, v3
	ds_bpermute_b32 v3, v2, v3
	s_waitcnt lgkmcnt(0)
	v_and_b32_e32 v5, 0xff, v3
	s_delay_alu instid0(VALU_DEP_1) | instskip(NEXT) | instid1(VALU_DEP_1)
	v_or_b32_e32 v4, v5, v4
	v_and_b32_e32 v4, 0xffff, v4
	s_delay_alu instid0(VALU_DEP_1)
	v_and_or_b32 v1, 0xff0000, v1, v4
	s_cbranch_scc0 .LBB198_1
; %bb.2:
	s_mov_b32 s0, exec_lo
	v_cmpx_eq_u32_e32 0, v0
	s_cbranch_execz .LBB198_4
; %bb.3:
	v_mov_b32_e32 v0, s15
	global_store_b8 v0, v3, s[2:3]
.LBB198_4:
	s_nop 0
	s_sendmsg sendmsg(MSG_DEALLOC_VGPRS)
	s_endpgm
	.section	.rodata,"a",@progbits
	.p2align	6, 0x0
	.amdhsa_kernel _Z6kernelI6reduceILN6hipcub20BlockReduceAlgorithmE2EEaLj256ELj3ELj100EEvPKT0_PS4_
		.amdhsa_group_segment_fixed_size 256
		.amdhsa_private_segment_fixed_size 0
		.amdhsa_kernarg_size 272
		.amdhsa_user_sgpr_count 15
		.amdhsa_user_sgpr_dispatch_ptr 0
		.amdhsa_user_sgpr_queue_ptr 0
		.amdhsa_user_sgpr_kernarg_segment_ptr 1
		.amdhsa_user_sgpr_dispatch_id 0
		.amdhsa_user_sgpr_private_segment_size 0
		.amdhsa_wavefront_size32 1
		.amdhsa_uses_dynamic_stack 0
		.amdhsa_enable_private_segment 0
		.amdhsa_system_sgpr_workgroup_id_x 1
		.amdhsa_system_sgpr_workgroup_id_y 0
		.amdhsa_system_sgpr_workgroup_id_z 0
		.amdhsa_system_sgpr_workgroup_info 0
		.amdhsa_system_vgpr_workitem_id 0
		.amdhsa_next_free_vgpr 12
		.amdhsa_next_free_sgpr 16
		.amdhsa_reserve_vcc 0
		.amdhsa_float_round_mode_32 0
		.amdhsa_float_round_mode_16_64 0
		.amdhsa_float_denorm_mode_32 3
		.amdhsa_float_denorm_mode_16_64 3
		.amdhsa_dx10_clamp 1
		.amdhsa_ieee_mode 1
		.amdhsa_fp16_overflow 0
		.amdhsa_workgroup_processor_mode 1
		.amdhsa_memory_ordered 1
		.amdhsa_forward_progress 0
		.amdhsa_shared_vgpr_count 0
		.amdhsa_exception_fp_ieee_invalid_op 0
		.amdhsa_exception_fp_denorm_src 0
		.amdhsa_exception_fp_ieee_div_zero 0
		.amdhsa_exception_fp_ieee_overflow 0
		.amdhsa_exception_fp_ieee_underflow 0
		.amdhsa_exception_fp_ieee_inexact 0
		.amdhsa_exception_int_div_zero 0
	.end_amdhsa_kernel
	.section	.text._Z6kernelI6reduceILN6hipcub20BlockReduceAlgorithmE2EEaLj256ELj3ELj100EEvPKT0_PS4_,"axG",@progbits,_Z6kernelI6reduceILN6hipcub20BlockReduceAlgorithmE2EEaLj256ELj3ELj100EEvPKT0_PS4_,comdat
.Lfunc_end198:
	.size	_Z6kernelI6reduceILN6hipcub20BlockReduceAlgorithmE2EEaLj256ELj3ELj100EEvPKT0_PS4_, .Lfunc_end198-_Z6kernelI6reduceILN6hipcub20BlockReduceAlgorithmE2EEaLj256ELj3ELj100EEvPKT0_PS4_
                                        ; -- End function
	.section	.AMDGPU.csdata,"",@progbits
; Kernel info:
; codeLenInByte = 616
; NumSgprs: 16
; NumVgprs: 12
; ScratchSize: 0
; MemoryBound: 0
; FloatMode: 240
; IeeeMode: 1
; LDSByteSize: 256 bytes/workgroup (compile time only)
; SGPRBlocks: 1
; VGPRBlocks: 1
; NumSGPRsForWavesPerEU: 16
; NumVGPRsForWavesPerEU: 12
; Occupancy: 16
; WaveLimiterHint : 0
; COMPUTE_PGM_RSRC2:SCRATCH_EN: 0
; COMPUTE_PGM_RSRC2:USER_SGPR: 15
; COMPUTE_PGM_RSRC2:TRAP_HANDLER: 0
; COMPUTE_PGM_RSRC2:TGID_X_EN: 1
; COMPUTE_PGM_RSRC2:TGID_Y_EN: 0
; COMPUTE_PGM_RSRC2:TGID_Z_EN: 0
; COMPUTE_PGM_RSRC2:TIDIG_COMP_CNT: 0
	.section	.text._Z6kernelI6reduceILN6hipcub20BlockReduceAlgorithmE2EEaLj256ELj4ELj100EEvPKT0_PS4_,"axG",@progbits,_Z6kernelI6reduceILN6hipcub20BlockReduceAlgorithmE2EEaLj256ELj4ELj100EEvPKT0_PS4_,comdat
	.protected	_Z6kernelI6reduceILN6hipcub20BlockReduceAlgorithmE2EEaLj256ELj4ELj100EEvPKT0_PS4_ ; -- Begin function _Z6kernelI6reduceILN6hipcub20BlockReduceAlgorithmE2EEaLj256ELj4ELj100EEvPKT0_PS4_
	.globl	_Z6kernelI6reduceILN6hipcub20BlockReduceAlgorithmE2EEaLj256ELj4ELj100EEvPKT0_PS4_
	.p2align	8
	.type	_Z6kernelI6reduceILN6hipcub20BlockReduceAlgorithmE2EEaLj256ELj4ELj100EEvPKT0_PS4_,@function
_Z6kernelI6reduceILN6hipcub20BlockReduceAlgorithmE2EEaLj256ELj4ELj100EEvPKT0_PS4_: ; @_Z6kernelI6reduceILN6hipcub20BlockReduceAlgorithmE2EEaLj256ELj4ELj100EEvPKT0_PS4_
; %bb.0:
	s_clause 0x1
	s_load_b32 s4, s[0:1], 0x1c
	s_load_b128 s[0:3], s[0:1], 0x0
	v_mov_b32_e32 v2, 0x7c
	s_waitcnt lgkmcnt(0)
	s_and_b32 s4, s4, 0xffff
	s_delay_alu instid0(SALU_CYCLE_1) | instskip(NEXT) | instid1(SALU_CYCLE_1)
	s_mul_i32 s4, s15, s4
	v_add_lshl_u32 v1, s4, v0, 2
	global_load_b32 v1, v1, s[0:1]
	s_movk_i32 s0, 0x64
.LBB199_1:                              ; =>This Inner Loop Header: Depth=1
	s_waitcnt vmcnt(0)
	s_delay_alu instid0(VALU_DEP_1)
	v_lshrrev_b32_e32 v3, 8, v1
	s_barrier
	buffer_gl0_inv
	ds_load_u8 v4, v0 offset:32
	ds_load_u8 v6, v0 offset:64
	v_lshrrev_b32_e32 v5, 16, v1
	v_add_nc_u16 v3, v3, v1
	v_lshrrev_b32_e32 v7, 24, v1
	s_add_i32 s0, s0, -1
	s_delay_alu instid0(SALU_CYCLE_1) | instskip(NEXT) | instid1(VALU_DEP_2)
	s_cmp_eq_u32 s0, 0
	v_add_nc_u16 v3, v3, v5
	ds_load_u8 v5, v0 offset:96
	v_add_nc_u16 v3, v3, v7
	ds_load_u8 v7, v0 offset:128
	ds_load_u8 v8, v0 offset:160
	;; [unrolled: 1-line block ×4, first 2 shown]
	s_waitcnt lgkmcnt(6)
	v_add_nc_u16 v3, v3, v4
	s_waitcnt lgkmcnt(5)
	s_delay_alu instid0(VALU_DEP_1) | instskip(SKIP_1) | instid1(VALU_DEP_1)
	v_add_nc_u16 v3, v3, v6
	s_waitcnt lgkmcnt(4)
	v_add_nc_u16 v3, v3, v5
	s_waitcnt lgkmcnt(3)
	s_delay_alu instid0(VALU_DEP_1) | instskip(SKIP_1) | instid1(VALU_DEP_1)
	v_add_nc_u16 v3, v3, v7
	;; [unrolled: 5-line block ×3, first 2 shown]
	s_waitcnt lgkmcnt(0)
	v_add_nc_u16 v3, v3, v10
	s_delay_alu instid0(VALU_DEP_1) | instskip(NEXT) | instid1(VALU_DEP_1)
	v_and_b32_e32 v4, 0xff, v3
	v_mov_b32_dpp v4, v4 quad_perm:[1,0,3,2] row_mask:0xf bank_mask:0xf
	s_delay_alu instid0(VALU_DEP_1) | instskip(NEXT) | instid1(VALU_DEP_1)
	v_add_nc_u16 v3, v3, v4
	v_and_b32_e32 v4, 0xff, v3
	s_delay_alu instid0(VALU_DEP_1) | instskip(NEXT) | instid1(VALU_DEP_1)
	v_mov_b32_dpp v4, v4 quad_perm:[2,3,0,1] row_mask:0xf bank_mask:0xf
	v_add_nc_u16 v3, v3, v4
	s_delay_alu instid0(VALU_DEP_1) | instskip(NEXT) | instid1(VALU_DEP_1)
	v_and_b32_e32 v4, 0xff, v3
	v_mov_b32_dpp v4, v4 row_ror:4 row_mask:0xf bank_mask:0xf
	s_delay_alu instid0(VALU_DEP_1) | instskip(NEXT) | instid1(VALU_DEP_1)
	v_add_nc_u16 v3, v3, v4
	v_and_b32_e32 v4, 0xff, v3
	s_delay_alu instid0(VALU_DEP_1) | instskip(NEXT) | instid1(VALU_DEP_1)
	v_mov_b32_dpp v4, v4 row_ror:8 row_mask:0xf bank_mask:0xf
	v_add_nc_u16 v3, v3, v4
	s_delay_alu instid0(VALU_DEP_1) | instskip(SKIP_3) | instid1(VALU_DEP_1)
	v_and_b32_e32 v4, 0xff, v3
	ds_swizzle_b32 v4, v4 offset:swizzle(BROADCAST,32,15)
	s_waitcnt lgkmcnt(0)
	v_add_nc_u16 v3, v3, v4
	v_and_b32_e32 v3, 0xff, v3
	ds_bpermute_b32 v3, v2, v3
	s_waitcnt lgkmcnt(0)
	v_perm_b32 v1, v3, v1, 0x3020104
	s_cbranch_scc0 .LBB199_1
; %bb.2:
	s_mov_b32 s0, exec_lo
	v_cmpx_eq_u32_e32 0, v0
	s_cbranch_execz .LBB199_4
; %bb.3:
	v_mov_b32_e32 v0, s15
	global_store_b8 v0, v3, s[2:3]
.LBB199_4:
	s_nop 0
	s_sendmsg sendmsg(MSG_DEALLOC_VGPRS)
	s_endpgm
	.section	.rodata,"a",@progbits
	.p2align	6, 0x0
	.amdhsa_kernel _Z6kernelI6reduceILN6hipcub20BlockReduceAlgorithmE2EEaLj256ELj4ELj100EEvPKT0_PS4_
		.amdhsa_group_segment_fixed_size 256
		.amdhsa_private_segment_fixed_size 0
		.amdhsa_kernarg_size 272
		.amdhsa_user_sgpr_count 15
		.amdhsa_user_sgpr_dispatch_ptr 0
		.amdhsa_user_sgpr_queue_ptr 0
		.amdhsa_user_sgpr_kernarg_segment_ptr 1
		.amdhsa_user_sgpr_dispatch_id 0
		.amdhsa_user_sgpr_private_segment_size 0
		.amdhsa_wavefront_size32 1
		.amdhsa_uses_dynamic_stack 0
		.amdhsa_enable_private_segment 0
		.amdhsa_system_sgpr_workgroup_id_x 1
		.amdhsa_system_sgpr_workgroup_id_y 0
		.amdhsa_system_sgpr_workgroup_id_z 0
		.amdhsa_system_sgpr_workgroup_info 0
		.amdhsa_system_vgpr_workitem_id 0
		.amdhsa_next_free_vgpr 11
		.amdhsa_next_free_sgpr 16
		.amdhsa_reserve_vcc 0
		.amdhsa_float_round_mode_32 0
		.amdhsa_float_round_mode_16_64 0
		.amdhsa_float_denorm_mode_32 3
		.amdhsa_float_denorm_mode_16_64 3
		.amdhsa_dx10_clamp 1
		.amdhsa_ieee_mode 1
		.amdhsa_fp16_overflow 0
		.amdhsa_workgroup_processor_mode 1
		.amdhsa_memory_ordered 1
		.amdhsa_forward_progress 0
		.amdhsa_shared_vgpr_count 0
		.amdhsa_exception_fp_ieee_invalid_op 0
		.amdhsa_exception_fp_denorm_src 0
		.amdhsa_exception_fp_ieee_div_zero 0
		.amdhsa_exception_fp_ieee_overflow 0
		.amdhsa_exception_fp_ieee_underflow 0
		.amdhsa_exception_fp_ieee_inexact 0
		.amdhsa_exception_int_div_zero 0
	.end_amdhsa_kernel
	.section	.text._Z6kernelI6reduceILN6hipcub20BlockReduceAlgorithmE2EEaLj256ELj4ELj100EEvPKT0_PS4_,"axG",@progbits,_Z6kernelI6reduceILN6hipcub20BlockReduceAlgorithmE2EEaLj256ELj4ELj100EEvPKT0_PS4_,comdat
.Lfunc_end199:
	.size	_Z6kernelI6reduceILN6hipcub20BlockReduceAlgorithmE2EEaLj256ELj4ELj100EEvPKT0_PS4_, .Lfunc_end199-_Z6kernelI6reduceILN6hipcub20BlockReduceAlgorithmE2EEaLj256ELj4ELj100EEvPKT0_PS4_
                                        ; -- End function
	.section	.AMDGPU.csdata,"",@progbits
; Kernel info:
; codeLenInByte = 512
; NumSgprs: 16
; NumVgprs: 11
; ScratchSize: 0
; MemoryBound: 0
; FloatMode: 240
; IeeeMode: 1
; LDSByteSize: 256 bytes/workgroup (compile time only)
; SGPRBlocks: 1
; VGPRBlocks: 1
; NumSGPRsForWavesPerEU: 16
; NumVGPRsForWavesPerEU: 11
; Occupancy: 16
; WaveLimiterHint : 0
; COMPUTE_PGM_RSRC2:SCRATCH_EN: 0
; COMPUTE_PGM_RSRC2:USER_SGPR: 15
; COMPUTE_PGM_RSRC2:TRAP_HANDLER: 0
; COMPUTE_PGM_RSRC2:TGID_X_EN: 1
; COMPUTE_PGM_RSRC2:TGID_Y_EN: 0
; COMPUTE_PGM_RSRC2:TGID_Z_EN: 0
; COMPUTE_PGM_RSRC2:TIDIG_COMP_CNT: 0
	.section	.text._Z6kernelI6reduceILN6hipcub20BlockReduceAlgorithmE2EEaLj256ELj8ELj100EEvPKT0_PS4_,"axG",@progbits,_Z6kernelI6reduceILN6hipcub20BlockReduceAlgorithmE2EEaLj256ELj8ELj100EEvPKT0_PS4_,comdat
	.protected	_Z6kernelI6reduceILN6hipcub20BlockReduceAlgorithmE2EEaLj256ELj8ELj100EEvPKT0_PS4_ ; -- Begin function _Z6kernelI6reduceILN6hipcub20BlockReduceAlgorithmE2EEaLj256ELj8ELj100EEvPKT0_PS4_
	.globl	_Z6kernelI6reduceILN6hipcub20BlockReduceAlgorithmE2EEaLj256ELj8ELj100EEvPKT0_PS4_
	.p2align	8
	.type	_Z6kernelI6reduceILN6hipcub20BlockReduceAlgorithmE2EEaLj256ELj8ELj100EEvPKT0_PS4_,@function
_Z6kernelI6reduceILN6hipcub20BlockReduceAlgorithmE2EEaLj256ELj8ELj100EEvPKT0_PS4_: ; @_Z6kernelI6reduceILN6hipcub20BlockReduceAlgorithmE2EEaLj256ELj8ELj100EEvPKT0_PS4_
; %bb.0:
	s_clause 0x1
	s_load_b32 s4, s[0:1], 0x1c
	s_load_b128 s[0:3], s[0:1], 0x0
	v_mov_b32_e32 v3, 0x7c
	s_waitcnt lgkmcnt(0)
	s_and_b32 s4, s4, 0xffff
	s_delay_alu instid0(SALU_CYCLE_1) | instskip(NEXT) | instid1(SALU_CYCLE_1)
	s_mul_i32 s4, s15, s4
	v_add_lshl_u32 v1, s4, v0, 3
	global_load_b64 v[1:2], v1, s[0:1]
	s_movk_i32 s0, 0x64
.LBB200_1:                              ; =>This Inner Loop Header: Depth=1
	s_waitcnt vmcnt(0)
	s_delay_alu instid0(VALU_DEP_1) | instskip(SKIP_3) | instid1(VALU_DEP_3)
	v_lshrrev_b32_e32 v4, 8, v1
	v_lshrrev_b32_e32 v5, 16, v1
	;; [unrolled: 1-line block ×3, first 2 shown]
	s_barrier
	v_add_nc_u16 v4, v4, v1
	buffer_gl0_inv
	v_lshrrev_b32_e32 v7, 16, v2
	s_add_i32 s0, s0, -1
	ds_load_u8 v8, v0 offset:64
	ds_load_u8 v9, v0 offset:96
	v_add_nc_u16 v4, v4, v5
	v_lshrrev_b32_e32 v5, 8, v2
	s_cmp_eq_u32 s0, 0
	s_delay_alu instid0(VALU_DEP_2) | instskip(SKIP_2) | instid1(VALU_DEP_1)
	v_add_nc_u16 v4, v4, v6
	ds_load_u8 v6, v0 offset:32
	v_add_nc_u16 v4, v4, v2
	v_add_nc_u16 v4, v4, v5
	v_lshrrev_b32_e32 v5, 24, v2
	v_perm_b32 v2, v2, v2, 0x3060504
	s_delay_alu instid0(VALU_DEP_3)
	v_add_nc_u16 v4, v4, v7
	ds_load_u8 v7, v0 offset:128
	v_add_nc_u16 v4, v4, v5
	ds_load_u8 v5, v0 offset:160
	ds_load_u8 v10, v0 offset:192
	;; [unrolled: 1-line block ×3, first 2 shown]
	s_waitcnt lgkmcnt(4)
	v_add_nc_u16 v4, v4, v6
	s_delay_alu instid0(VALU_DEP_1) | instskip(NEXT) | instid1(VALU_DEP_1)
	v_add_nc_u16 v4, v4, v8
	v_add_nc_u16 v4, v4, v9
	s_waitcnt lgkmcnt(3)
	s_delay_alu instid0(VALU_DEP_1) | instskip(SKIP_1) | instid1(VALU_DEP_1)
	v_add_nc_u16 v4, v4, v7
	s_waitcnt lgkmcnt(2)
	v_add_nc_u16 v4, v4, v5
	s_waitcnt lgkmcnt(1)
	s_delay_alu instid0(VALU_DEP_1) | instskip(SKIP_1) | instid1(VALU_DEP_1)
	v_add_nc_u16 v4, v4, v10
	s_waitcnt lgkmcnt(0)
	v_add_nc_u16 v4, v4, v11
	s_delay_alu instid0(VALU_DEP_1) | instskip(NEXT) | instid1(VALU_DEP_1)
	v_and_b32_e32 v5, 0xff, v4
	v_mov_b32_dpp v5, v5 quad_perm:[1,0,3,2] row_mask:0xf bank_mask:0xf
	s_delay_alu instid0(VALU_DEP_1) | instskip(NEXT) | instid1(VALU_DEP_1)
	v_add_nc_u16 v4, v4, v5
	v_and_b32_e32 v5, 0xff, v4
	s_delay_alu instid0(VALU_DEP_1) | instskip(NEXT) | instid1(VALU_DEP_1)
	v_mov_b32_dpp v5, v5 quad_perm:[2,3,0,1] row_mask:0xf bank_mask:0xf
	v_add_nc_u16 v4, v4, v5
	s_delay_alu instid0(VALU_DEP_1) | instskip(NEXT) | instid1(VALU_DEP_1)
	v_and_b32_e32 v5, 0xff, v4
	v_mov_b32_dpp v5, v5 row_ror:4 row_mask:0xf bank_mask:0xf
	s_delay_alu instid0(VALU_DEP_1) | instskip(NEXT) | instid1(VALU_DEP_1)
	v_add_nc_u16 v4, v4, v5
	v_and_b32_e32 v5, 0xff, v4
	s_delay_alu instid0(VALU_DEP_1) | instskip(NEXT) | instid1(VALU_DEP_1)
	v_mov_b32_dpp v5, v5 row_ror:8 row_mask:0xf bank_mask:0xf
	v_add_nc_u16 v4, v4, v5
	s_delay_alu instid0(VALU_DEP_1) | instskip(SKIP_3) | instid1(VALU_DEP_1)
	v_and_b32_e32 v5, 0xff, v4
	ds_swizzle_b32 v5, v5 offset:swizzle(BROADCAST,32,15)
	s_waitcnt lgkmcnt(0)
	v_add_nc_u16 v4, v4, v5
	v_and_b32_e32 v4, 0xff, v4
	ds_bpermute_b32 v4, v3, v4
	s_waitcnt lgkmcnt(0)
	v_perm_b32 v1, v4, v1, 0x3020104
	s_cbranch_scc0 .LBB200_1
; %bb.2:
	s_mov_b32 s0, exec_lo
	v_cmpx_eq_u32_e32 0, v0
	s_cbranch_execz .LBB200_4
; %bb.3:
	v_mov_b32_e32 v0, s15
	global_store_b8 v0, v4, s[2:3]
.LBB200_4:
	s_nop 0
	s_sendmsg sendmsg(MSG_DEALLOC_VGPRS)
	s_endpgm
	.section	.rodata,"a",@progbits
	.p2align	6, 0x0
	.amdhsa_kernel _Z6kernelI6reduceILN6hipcub20BlockReduceAlgorithmE2EEaLj256ELj8ELj100EEvPKT0_PS4_
		.amdhsa_group_segment_fixed_size 256
		.amdhsa_private_segment_fixed_size 0
		.amdhsa_kernarg_size 272
		.amdhsa_user_sgpr_count 15
		.amdhsa_user_sgpr_dispatch_ptr 0
		.amdhsa_user_sgpr_queue_ptr 0
		.amdhsa_user_sgpr_kernarg_segment_ptr 1
		.amdhsa_user_sgpr_dispatch_id 0
		.amdhsa_user_sgpr_private_segment_size 0
		.amdhsa_wavefront_size32 1
		.amdhsa_uses_dynamic_stack 0
		.amdhsa_enable_private_segment 0
		.amdhsa_system_sgpr_workgroup_id_x 1
		.amdhsa_system_sgpr_workgroup_id_y 0
		.amdhsa_system_sgpr_workgroup_id_z 0
		.amdhsa_system_sgpr_workgroup_info 0
		.amdhsa_system_vgpr_workitem_id 0
		.amdhsa_next_free_vgpr 12
		.amdhsa_next_free_sgpr 16
		.amdhsa_reserve_vcc 0
		.amdhsa_float_round_mode_32 0
		.amdhsa_float_round_mode_16_64 0
		.amdhsa_float_denorm_mode_32 3
		.amdhsa_float_denorm_mode_16_64 3
		.amdhsa_dx10_clamp 1
		.amdhsa_ieee_mode 1
		.amdhsa_fp16_overflow 0
		.amdhsa_workgroup_processor_mode 1
		.amdhsa_memory_ordered 1
		.amdhsa_forward_progress 0
		.amdhsa_shared_vgpr_count 0
		.amdhsa_exception_fp_ieee_invalid_op 0
		.amdhsa_exception_fp_denorm_src 0
		.amdhsa_exception_fp_ieee_div_zero 0
		.amdhsa_exception_fp_ieee_overflow 0
		.amdhsa_exception_fp_ieee_underflow 0
		.amdhsa_exception_fp_ieee_inexact 0
		.amdhsa_exception_int_div_zero 0
	.end_amdhsa_kernel
	.section	.text._Z6kernelI6reduceILN6hipcub20BlockReduceAlgorithmE2EEaLj256ELj8ELj100EEvPKT0_PS4_,"axG",@progbits,_Z6kernelI6reduceILN6hipcub20BlockReduceAlgorithmE2EEaLj256ELj8ELj100EEvPKT0_PS4_,comdat
.Lfunc_end200:
	.size	_Z6kernelI6reduceILN6hipcub20BlockReduceAlgorithmE2EEaLj256ELj8ELj100EEvPKT0_PS4_, .Lfunc_end200-_Z6kernelI6reduceILN6hipcub20BlockReduceAlgorithmE2EEaLj256ELj8ELj100EEvPKT0_PS4_
                                        ; -- End function
	.section	.AMDGPU.csdata,"",@progbits
; Kernel info:
; codeLenInByte = 564
; NumSgprs: 16
; NumVgprs: 12
; ScratchSize: 0
; MemoryBound: 0
; FloatMode: 240
; IeeeMode: 1
; LDSByteSize: 256 bytes/workgroup (compile time only)
; SGPRBlocks: 1
; VGPRBlocks: 1
; NumSGPRsForWavesPerEU: 16
; NumVGPRsForWavesPerEU: 12
; Occupancy: 16
; WaveLimiterHint : 0
; COMPUTE_PGM_RSRC2:SCRATCH_EN: 0
; COMPUTE_PGM_RSRC2:USER_SGPR: 15
; COMPUTE_PGM_RSRC2:TRAP_HANDLER: 0
; COMPUTE_PGM_RSRC2:TGID_X_EN: 1
; COMPUTE_PGM_RSRC2:TGID_Y_EN: 0
; COMPUTE_PGM_RSRC2:TGID_Z_EN: 0
; COMPUTE_PGM_RSRC2:TIDIG_COMP_CNT: 0
	.section	.text._Z6kernelI6reduceILN6hipcub20BlockReduceAlgorithmE2EEaLj256ELj11ELj100EEvPKT0_PS4_,"axG",@progbits,_Z6kernelI6reduceILN6hipcub20BlockReduceAlgorithmE2EEaLj256ELj11ELj100EEvPKT0_PS4_,comdat
	.protected	_Z6kernelI6reduceILN6hipcub20BlockReduceAlgorithmE2EEaLj256ELj11ELj100EEvPKT0_PS4_ ; -- Begin function _Z6kernelI6reduceILN6hipcub20BlockReduceAlgorithmE2EEaLj256ELj11ELj100EEvPKT0_PS4_
	.globl	_Z6kernelI6reduceILN6hipcub20BlockReduceAlgorithmE2EEaLj256ELj11ELj100EEvPKT0_PS4_
	.p2align	8
	.type	_Z6kernelI6reduceILN6hipcub20BlockReduceAlgorithmE2EEaLj256ELj11ELj100EEvPKT0_PS4_,@function
_Z6kernelI6reduceILN6hipcub20BlockReduceAlgorithmE2EEaLj256ELj11ELj100EEvPKT0_PS4_: ; @_Z6kernelI6reduceILN6hipcub20BlockReduceAlgorithmE2EEaLj256ELj11ELj100EEvPKT0_PS4_
; %bb.0:
	s_load_b32 s2, s[0:1], 0x1c
	s_waitcnt lgkmcnt(0)
	s_and_b32 s2, s2, 0xffff
	s_delay_alu instid0(SALU_CYCLE_1) | instskip(SKIP_1) | instid1(VALU_DEP_1)
	v_mad_u64_u32 v[1:2], null, s15, s2, v[0:1]
	s_load_b128 s[0:3], s[0:1], 0x0
	v_mul_lo_u32 v1, v1, 11
	s_delay_alu instid0(VALU_DEP_1)
	v_add_nc_u32_e32 v3, 5, v1
	v_add_nc_u32_e32 v4, 7, v1
	;; [unrolled: 1-line block ×5, first 2 shown]
	s_waitcnt lgkmcnt(0)
	s_clause 0x1
	global_load_u8 v8, v3, s[0:1]
	global_load_u8 v4, v4, s[0:1]
	v_add_nc_u32_e32 v7, 6, v1
	v_add_nc_u32_e32 v3, 2, v1
	s_clause 0x5
	global_load_u8 v9, v2, s[0:1]
	global_load_u8 v5, v5, s[0:1]
	;; [unrolled: 1-line block ×6, first 2 shown]
	v_add_nc_u32_e32 v2, 8, v1
	v_add_nc_u32_e32 v3, 9, v1
	;; [unrolled: 1-line block ×3, first 2 shown]
	s_clause 0x2
	global_load_u8 v1, v2, s[0:1]
	global_load_u8 v2, v3, s[0:1]
	;; [unrolled: 1-line block ×3, first 2 shown]
	s_movk_i32 s0, 0x64
	s_waitcnt vmcnt(8)
	v_lshlrev_b16 v9, 8, v9
	v_lshlrev_b16 v8, 8, v8
	;; [unrolled: 1-line block ×3, first 2 shown]
	s_waitcnt vmcnt(7)
	v_lshlrev_b16 v5, 8, v5
	s_waitcnt vmcnt(6)
	v_or_b32_e32 v6, v6, v8
	s_waitcnt vmcnt(5)
	v_or_b32_e32 v4, v7, v4
	;; [unrolled: 2-line block ×4, first 2 shown]
	v_and_b32_e32 v6, 0xffff, v6
	v_lshlrev_b32_e32 v4, 16, v4
	v_and_b32_e32 v7, 0xffff, v7
	s_delay_alu instid0(VALU_DEP_4) | instskip(NEXT) | instid1(VALU_DEP_3)
	v_dual_mov_b32 v5, 0x7c :: v_dual_lshlrev_b32 v8, 16, v5
	v_or_b32_e32 v4, v6, v4
	s_delay_alu instid0(VALU_DEP_2) | instskip(NEXT) | instid1(VALU_DEP_2)
	v_or_b32_e32 v6, v7, v8
	v_lshrrev_b32_e32 v7, 16, v4
	v_lshrrev_b32_e32 v8, 8, v4
	;; [unrolled: 1-line block ×3, first 2 shown]
.LBB201_1:                              ; =>This Inner Loop Header: Depth=1
	s_delay_alu instid0(VALU_DEP_1)
	v_lshrrev_b32_e32 v10, 8, v6
	v_lshrrev_b32_e32 v11, 16, v6
	;; [unrolled: 1-line block ×3, first 2 shown]
	s_waitcnt vmcnt(0)
	s_barrier
	v_add_nc_u16 v10, v10, v6
	buffer_gl0_inv
	s_add_i32 s0, s0, -1
	ds_load_u8 v13, v0 offset:96
	s_cmp_eq_u32 s0, 0
	v_add_nc_u16 v10, v10, v11
	ds_load_u8 v11, v0 offset:32
	v_add_nc_u16 v10, v10, v12
	ds_load_u8 v12, v0 offset:64
	ds_load_u8 v14, v0 offset:128
	;; [unrolled: 1-line block ×5, first 2 shown]
	v_add_nc_u16 v10, v10, v4
	s_delay_alu instid0(VALU_DEP_1) | instskip(NEXT) | instid1(VALU_DEP_1)
	v_add_nc_u16 v10, v10, v8
	v_add_nc_u16 v10, v10, v7
	s_delay_alu instid0(VALU_DEP_1) | instskip(NEXT) | instid1(VALU_DEP_1)
	v_add_nc_u16 v10, v10, v9
	;; [unrolled: 3-line block ×3, first 2 shown]
	v_add_nc_u16 v10, v10, v3
	s_waitcnt lgkmcnt(5)
	s_delay_alu instid0(VALU_DEP_1) | instskip(SKIP_1) | instid1(VALU_DEP_1)
	v_add_nc_u16 v10, v10, v11
	s_waitcnt lgkmcnt(4)
	v_add_nc_u16 v10, v10, v12
	s_delay_alu instid0(VALU_DEP_1) | instskip(SKIP_1) | instid1(VALU_DEP_1)
	v_add_nc_u16 v10, v10, v13
	s_waitcnt lgkmcnt(3)
	v_add_nc_u16 v10, v10, v14
	s_waitcnt lgkmcnt(2)
	s_delay_alu instid0(VALU_DEP_1) | instskip(SKIP_1) | instid1(VALU_DEP_1)
	v_add_nc_u16 v10, v10, v15
	s_waitcnt lgkmcnt(1)
	v_add_nc_u16 v10, v10, v16
	s_waitcnt lgkmcnt(0)
	s_delay_alu instid0(VALU_DEP_1) | instskip(NEXT) | instid1(VALU_DEP_1)
	v_add_nc_u16 v10, v10, v17
	v_and_b32_e32 v11, 0xff, v10
	s_delay_alu instid0(VALU_DEP_1) | instskip(NEXT) | instid1(VALU_DEP_1)
	v_mov_b32_dpp v11, v11 quad_perm:[1,0,3,2] row_mask:0xf bank_mask:0xf
	v_add_nc_u16 v10, v10, v11
	s_delay_alu instid0(VALU_DEP_1) | instskip(NEXT) | instid1(VALU_DEP_1)
	v_and_b32_e32 v11, 0xff, v10
	v_mov_b32_dpp v11, v11 quad_perm:[2,3,0,1] row_mask:0xf bank_mask:0xf
	s_delay_alu instid0(VALU_DEP_1) | instskip(NEXT) | instid1(VALU_DEP_1)
	v_add_nc_u16 v10, v10, v11
	v_and_b32_e32 v11, 0xff, v10
	s_delay_alu instid0(VALU_DEP_1) | instskip(NEXT) | instid1(VALU_DEP_1)
	v_mov_b32_dpp v11, v11 row_ror:4 row_mask:0xf bank_mask:0xf
	v_add_nc_u16 v10, v10, v11
	s_delay_alu instid0(VALU_DEP_1) | instskip(NEXT) | instid1(VALU_DEP_1)
	v_and_b32_e32 v11, 0xff, v10
	v_mov_b32_dpp v11, v11 row_ror:8 row_mask:0xf bank_mask:0xf
	s_delay_alu instid0(VALU_DEP_1) | instskip(NEXT) | instid1(VALU_DEP_1)
	v_add_nc_u16 v10, v10, v11
	v_and_b32_e32 v11, 0xff, v10
	ds_swizzle_b32 v11, v11 offset:swizzle(BROADCAST,32,15)
	s_waitcnt lgkmcnt(0)
	v_add_nc_u16 v10, v10, v11
	s_delay_alu instid0(VALU_DEP_1)
	v_and_b32_e32 v10, 0xff, v10
	ds_bpermute_b32 v10, v5, v10
	s_waitcnt lgkmcnt(0)
	v_perm_b32 v6, v10, v6, 0x3020104
	s_cbranch_scc0 .LBB201_1
; %bb.2:
	s_mov_b32 s0, exec_lo
	v_cmpx_eq_u32_e32 0, v0
	s_cbranch_execz .LBB201_4
; %bb.3:
	v_mov_b32_e32 v0, s15
	global_store_b8 v0, v10, s[2:3]
.LBB201_4:
	s_nop 0
	s_sendmsg sendmsg(MSG_DEALLOC_VGPRS)
	s_endpgm
	.section	.rodata,"a",@progbits
	.p2align	6, 0x0
	.amdhsa_kernel _Z6kernelI6reduceILN6hipcub20BlockReduceAlgorithmE2EEaLj256ELj11ELj100EEvPKT0_PS4_
		.amdhsa_group_segment_fixed_size 256
		.amdhsa_private_segment_fixed_size 0
		.amdhsa_kernarg_size 272
		.amdhsa_user_sgpr_count 15
		.amdhsa_user_sgpr_dispatch_ptr 0
		.amdhsa_user_sgpr_queue_ptr 0
		.amdhsa_user_sgpr_kernarg_segment_ptr 1
		.amdhsa_user_sgpr_dispatch_id 0
		.amdhsa_user_sgpr_private_segment_size 0
		.amdhsa_wavefront_size32 1
		.amdhsa_uses_dynamic_stack 0
		.amdhsa_enable_private_segment 0
		.amdhsa_system_sgpr_workgroup_id_x 1
		.amdhsa_system_sgpr_workgroup_id_y 0
		.amdhsa_system_sgpr_workgroup_id_z 0
		.amdhsa_system_sgpr_workgroup_info 0
		.amdhsa_system_vgpr_workitem_id 0
		.amdhsa_next_free_vgpr 18
		.amdhsa_next_free_sgpr 16
		.amdhsa_reserve_vcc 0
		.amdhsa_float_round_mode_32 0
		.amdhsa_float_round_mode_16_64 0
		.amdhsa_float_denorm_mode_32 3
		.amdhsa_float_denorm_mode_16_64 3
		.amdhsa_dx10_clamp 1
		.amdhsa_ieee_mode 1
		.amdhsa_fp16_overflow 0
		.amdhsa_workgroup_processor_mode 1
		.amdhsa_memory_ordered 1
		.amdhsa_forward_progress 0
		.amdhsa_shared_vgpr_count 0
		.amdhsa_exception_fp_ieee_invalid_op 0
		.amdhsa_exception_fp_denorm_src 0
		.amdhsa_exception_fp_ieee_div_zero 0
		.amdhsa_exception_fp_ieee_overflow 0
		.amdhsa_exception_fp_ieee_underflow 0
		.amdhsa_exception_fp_ieee_inexact 0
		.amdhsa_exception_int_div_zero 0
	.end_amdhsa_kernel
	.section	.text._Z6kernelI6reduceILN6hipcub20BlockReduceAlgorithmE2EEaLj256ELj11ELj100EEvPKT0_PS4_,"axG",@progbits,_Z6kernelI6reduceILN6hipcub20BlockReduceAlgorithmE2EEaLj256ELj11ELj100EEvPKT0_PS4_,comdat
.Lfunc_end201:
	.size	_Z6kernelI6reduceILN6hipcub20BlockReduceAlgorithmE2EEaLj256ELj11ELj100EEvPKT0_PS4_, .Lfunc_end201-_Z6kernelI6reduceILN6hipcub20BlockReduceAlgorithmE2EEaLj256ELj11ELj100EEvPKT0_PS4_
                                        ; -- End function
	.section	.AMDGPU.csdata,"",@progbits
; Kernel info:
; codeLenInByte = 840
; NumSgprs: 16
; NumVgprs: 18
; ScratchSize: 0
; MemoryBound: 0
; FloatMode: 240
; IeeeMode: 1
; LDSByteSize: 256 bytes/workgroup (compile time only)
; SGPRBlocks: 1
; VGPRBlocks: 2
; NumSGPRsForWavesPerEU: 16
; NumVGPRsForWavesPerEU: 18
; Occupancy: 16
; WaveLimiterHint : 0
; COMPUTE_PGM_RSRC2:SCRATCH_EN: 0
; COMPUTE_PGM_RSRC2:USER_SGPR: 15
; COMPUTE_PGM_RSRC2:TRAP_HANDLER: 0
; COMPUTE_PGM_RSRC2:TGID_X_EN: 1
; COMPUTE_PGM_RSRC2:TGID_Y_EN: 0
; COMPUTE_PGM_RSRC2:TGID_Z_EN: 0
; COMPUTE_PGM_RSRC2:TIDIG_COMP_CNT: 0
	.section	.text._Z6kernelI6reduceILN6hipcub20BlockReduceAlgorithmE2EEaLj256ELj16ELj100EEvPKT0_PS4_,"axG",@progbits,_Z6kernelI6reduceILN6hipcub20BlockReduceAlgorithmE2EEaLj256ELj16ELj100EEvPKT0_PS4_,comdat
	.protected	_Z6kernelI6reduceILN6hipcub20BlockReduceAlgorithmE2EEaLj256ELj16ELj100EEvPKT0_PS4_ ; -- Begin function _Z6kernelI6reduceILN6hipcub20BlockReduceAlgorithmE2EEaLj256ELj16ELj100EEvPKT0_PS4_
	.globl	_Z6kernelI6reduceILN6hipcub20BlockReduceAlgorithmE2EEaLj256ELj16ELj100EEvPKT0_PS4_
	.p2align	8
	.type	_Z6kernelI6reduceILN6hipcub20BlockReduceAlgorithmE2EEaLj256ELj16ELj100EEvPKT0_PS4_,@function
_Z6kernelI6reduceILN6hipcub20BlockReduceAlgorithmE2EEaLj256ELj16ELj100EEvPKT0_PS4_: ; @_Z6kernelI6reduceILN6hipcub20BlockReduceAlgorithmE2EEaLj256ELj16ELj100EEvPKT0_PS4_
; %bb.0:
	s_clause 0x1
	s_load_b32 s4, s[0:1], 0x1c
	s_load_b128 s[0:3], s[0:1], 0x0
	v_mov_b32_e32 v5, 0x7c
	s_waitcnt lgkmcnt(0)
	s_and_b32 s4, s4, 0xffff
	s_delay_alu instid0(SALU_CYCLE_1) | instskip(NEXT) | instid1(SALU_CYCLE_1)
	s_mul_i32 s4, s15, s4
	v_add_lshl_u32 v1, s4, v0, 4
	global_load_b128 v[1:4], v1, s[0:1]
	s_movk_i32 s0, 0x64
	s_waitcnt vmcnt(0)
	v_lshrrev_b32_e32 v6, 8, v3
	v_lshrrev_b32_e32 v7, 16, v3
	;; [unrolled: 1-line block ×3, first 2 shown]
.LBB202_1:                              ; =>This Inner Loop Header: Depth=1
	s_delay_alu instid0(VALU_DEP_1) | instskip(SKIP_3) | instid1(VALU_DEP_3)
	v_lshrrev_b32_e32 v9, 8, v1
	v_lshrrev_b32_e32 v10, 16, v1
	;; [unrolled: 1-line block ×3, first 2 shown]
	s_barrier
	v_add_nc_u16 v9, v9, v1
	buffer_gl0_inv
	v_lshrrev_b32_e32 v12, 16, v4
	s_add_i32 s0, s0, -1
	ds_load_u8 v13, v0 offset:64
	ds_load_u8 v14, v0 offset:96
	v_add_nc_u16 v9, v9, v10
	v_lshrrev_b32_e32 v10, 8, v2
	s_cmp_eq_u32 s0, 0
	s_delay_alu instid0(VALU_DEP_2) | instskip(SKIP_1) | instid1(VALU_DEP_2)
	v_add_nc_u16 v9, v9, v11
	v_lshrrev_b32_e32 v11, 16, v2
	v_add_nc_u16 v9, v9, v2
	s_delay_alu instid0(VALU_DEP_1) | instskip(SKIP_2) | instid1(VALU_DEP_3)
	v_add_nc_u16 v9, v9, v10
	v_lshrrev_b32_e32 v10, 24, v2
	v_perm_b32 v2, v2, v2, 0x3060504
	v_add_nc_u16 v9, v9, v11
	ds_load_u8 v11, v0 offset:32
	v_add_nc_u16 v9, v9, v10
	v_lshrrev_b32_e32 v10, 8, v4
	s_delay_alu instid0(VALU_DEP_2) | instskip(NEXT) | instid1(VALU_DEP_1)
	v_add_nc_u16 v9, v9, v3
	v_add_nc_u16 v9, v9, v6
	s_delay_alu instid0(VALU_DEP_1) | instskip(NEXT) | instid1(VALU_DEP_1)
	v_add_nc_u16 v9, v9, v7
	v_add_nc_u16 v9, v9, v8
	s_delay_alu instid0(VALU_DEP_1) | instskip(NEXT) | instid1(VALU_DEP_1)
	v_add_nc_u16 v9, v9, v4
	v_add_nc_u16 v9, v9, v10
	v_lshrrev_b32_e32 v10, 24, v4
	v_perm_b32 v4, v4, v4, 0x3060504
	s_delay_alu instid0(VALU_DEP_3)
	v_add_nc_u16 v9, v9, v12
	ds_load_u8 v12, v0 offset:128
	v_add_nc_u16 v9, v9, v10
	ds_load_u8 v10, v0 offset:160
	ds_load_u8 v15, v0 offset:192
	;; [unrolled: 1-line block ×3, first 2 shown]
	s_waitcnt lgkmcnt(4)
	v_add_nc_u16 v9, v9, v11
	s_delay_alu instid0(VALU_DEP_1) | instskip(NEXT) | instid1(VALU_DEP_1)
	v_add_nc_u16 v9, v9, v13
	v_add_nc_u16 v9, v9, v14
	s_waitcnt lgkmcnt(3)
	s_delay_alu instid0(VALU_DEP_1) | instskip(SKIP_1) | instid1(VALU_DEP_1)
	v_add_nc_u16 v9, v9, v12
	s_waitcnt lgkmcnt(2)
	v_add_nc_u16 v9, v9, v10
	s_waitcnt lgkmcnt(1)
	s_delay_alu instid0(VALU_DEP_1) | instskip(SKIP_1) | instid1(VALU_DEP_1)
	v_add_nc_u16 v9, v9, v15
	s_waitcnt lgkmcnt(0)
	v_add_nc_u16 v9, v9, v16
	s_delay_alu instid0(VALU_DEP_1) | instskip(NEXT) | instid1(VALU_DEP_1)
	v_and_b32_e32 v10, 0xff, v9
	v_mov_b32_dpp v10, v10 quad_perm:[1,0,3,2] row_mask:0xf bank_mask:0xf
	s_delay_alu instid0(VALU_DEP_1) | instskip(NEXT) | instid1(VALU_DEP_1)
	v_add_nc_u16 v9, v9, v10
	v_and_b32_e32 v10, 0xff, v9
	s_delay_alu instid0(VALU_DEP_1) | instskip(NEXT) | instid1(VALU_DEP_1)
	v_mov_b32_dpp v10, v10 quad_perm:[2,3,0,1] row_mask:0xf bank_mask:0xf
	v_add_nc_u16 v9, v9, v10
	s_delay_alu instid0(VALU_DEP_1) | instskip(NEXT) | instid1(VALU_DEP_1)
	v_and_b32_e32 v10, 0xff, v9
	v_mov_b32_dpp v10, v10 row_ror:4 row_mask:0xf bank_mask:0xf
	s_delay_alu instid0(VALU_DEP_1) | instskip(NEXT) | instid1(VALU_DEP_1)
	v_add_nc_u16 v9, v9, v10
	v_and_b32_e32 v10, 0xff, v9
	s_delay_alu instid0(VALU_DEP_1) | instskip(NEXT) | instid1(VALU_DEP_1)
	v_mov_b32_dpp v10, v10 row_ror:8 row_mask:0xf bank_mask:0xf
	v_add_nc_u16 v9, v9, v10
	s_delay_alu instid0(VALU_DEP_1) | instskip(SKIP_3) | instid1(VALU_DEP_1)
	v_and_b32_e32 v10, 0xff, v9
	ds_swizzle_b32 v10, v10 offset:swizzle(BROADCAST,32,15)
	s_waitcnt lgkmcnt(0)
	v_add_nc_u16 v9, v9, v10
	v_and_b32_e32 v9, 0xff, v9
	ds_bpermute_b32 v9, v5, v9
	s_waitcnt lgkmcnt(0)
	v_perm_b32 v1, v9, v1, 0x3020104
	s_cbranch_scc0 .LBB202_1
; %bb.2:
	s_mov_b32 s0, exec_lo
	v_cmpx_eq_u32_e32 0, v0
	s_cbranch_execz .LBB202_4
; %bb.3:
	v_mov_b32_e32 v0, s15
	global_store_b8 v0, v9, s[2:3]
.LBB202_4:
	s_nop 0
	s_sendmsg sendmsg(MSG_DEALLOC_VGPRS)
	s_endpgm
	.section	.rodata,"a",@progbits
	.p2align	6, 0x0
	.amdhsa_kernel _Z6kernelI6reduceILN6hipcub20BlockReduceAlgorithmE2EEaLj256ELj16ELj100EEvPKT0_PS4_
		.amdhsa_group_segment_fixed_size 256
		.amdhsa_private_segment_fixed_size 0
		.amdhsa_kernarg_size 272
		.amdhsa_user_sgpr_count 15
		.amdhsa_user_sgpr_dispatch_ptr 0
		.amdhsa_user_sgpr_queue_ptr 0
		.amdhsa_user_sgpr_kernarg_segment_ptr 1
		.amdhsa_user_sgpr_dispatch_id 0
		.amdhsa_user_sgpr_private_segment_size 0
		.amdhsa_wavefront_size32 1
		.amdhsa_uses_dynamic_stack 0
		.amdhsa_enable_private_segment 0
		.amdhsa_system_sgpr_workgroup_id_x 1
		.amdhsa_system_sgpr_workgroup_id_y 0
		.amdhsa_system_sgpr_workgroup_id_z 0
		.amdhsa_system_sgpr_workgroup_info 0
		.amdhsa_system_vgpr_workitem_id 0
		.amdhsa_next_free_vgpr 17
		.amdhsa_next_free_sgpr 16
		.amdhsa_reserve_vcc 0
		.amdhsa_float_round_mode_32 0
		.amdhsa_float_round_mode_16_64 0
		.amdhsa_float_denorm_mode_32 3
		.amdhsa_float_denorm_mode_16_64 3
		.amdhsa_dx10_clamp 1
		.amdhsa_ieee_mode 1
		.amdhsa_fp16_overflow 0
		.amdhsa_workgroup_processor_mode 1
		.amdhsa_memory_ordered 1
		.amdhsa_forward_progress 0
		.amdhsa_shared_vgpr_count 0
		.amdhsa_exception_fp_ieee_invalid_op 0
		.amdhsa_exception_fp_denorm_src 0
		.amdhsa_exception_fp_ieee_div_zero 0
		.amdhsa_exception_fp_ieee_overflow 0
		.amdhsa_exception_fp_ieee_underflow 0
		.amdhsa_exception_fp_ieee_inexact 0
		.amdhsa_exception_int_div_zero 0
	.end_amdhsa_kernel
	.section	.text._Z6kernelI6reduceILN6hipcub20BlockReduceAlgorithmE2EEaLj256ELj16ELj100EEvPKT0_PS4_,"axG",@progbits,_Z6kernelI6reduceILN6hipcub20BlockReduceAlgorithmE2EEaLj256ELj16ELj100EEvPKT0_PS4_,comdat
.Lfunc_end202:
	.size	_Z6kernelI6reduceILN6hipcub20BlockReduceAlgorithmE2EEaLj256ELj16ELj100EEvPKT0_PS4_, .Lfunc_end202-_Z6kernelI6reduceILN6hipcub20BlockReduceAlgorithmE2EEaLj256ELj16ELj100EEvPKT0_PS4_
                                        ; -- End function
	.section	.AMDGPU.csdata,"",@progbits
; Kernel info:
; codeLenInByte = 680
; NumSgprs: 16
; NumVgprs: 17
; ScratchSize: 0
; MemoryBound: 0
; FloatMode: 240
; IeeeMode: 1
; LDSByteSize: 256 bytes/workgroup (compile time only)
; SGPRBlocks: 1
; VGPRBlocks: 2
; NumSGPRsForWavesPerEU: 16
; NumVGPRsForWavesPerEU: 17
; Occupancy: 16
; WaveLimiterHint : 0
; COMPUTE_PGM_RSRC2:SCRATCH_EN: 0
; COMPUTE_PGM_RSRC2:USER_SGPR: 15
; COMPUTE_PGM_RSRC2:TRAP_HANDLER: 0
; COMPUTE_PGM_RSRC2:TGID_X_EN: 1
; COMPUTE_PGM_RSRC2:TGID_Y_EN: 0
; COMPUTE_PGM_RSRC2:TGID_Z_EN: 0
; COMPUTE_PGM_RSRC2:TIDIG_COMP_CNT: 0
	.section	.text._Z6kernelI6reduceILN6hipcub20BlockReduceAlgorithmE2EEhLj256ELj1ELj100EEvPKT0_PS4_,"axG",@progbits,_Z6kernelI6reduceILN6hipcub20BlockReduceAlgorithmE2EEhLj256ELj1ELj100EEvPKT0_PS4_,comdat
	.protected	_Z6kernelI6reduceILN6hipcub20BlockReduceAlgorithmE2EEhLj256ELj1ELj100EEvPKT0_PS4_ ; -- Begin function _Z6kernelI6reduceILN6hipcub20BlockReduceAlgorithmE2EEhLj256ELj1ELj100EEvPKT0_PS4_
	.globl	_Z6kernelI6reduceILN6hipcub20BlockReduceAlgorithmE2EEhLj256ELj1ELj100EEvPKT0_PS4_
	.p2align	8
	.type	_Z6kernelI6reduceILN6hipcub20BlockReduceAlgorithmE2EEhLj256ELj1ELj100EEvPKT0_PS4_,@function
_Z6kernelI6reduceILN6hipcub20BlockReduceAlgorithmE2EEhLj256ELj1ELj100EEvPKT0_PS4_: ; @_Z6kernelI6reduceILN6hipcub20BlockReduceAlgorithmE2EEhLj256ELj1ELj100EEvPKT0_PS4_
; %bb.0:
	s_clause 0x1
	s_load_b32 s4, s[0:1], 0x1c
	s_load_b128 s[0:3], s[0:1], 0x0
	s_waitcnt lgkmcnt(0)
	s_and_b32 s4, s4, 0xffff
	s_delay_alu instid0(SALU_CYCLE_1)
	v_mad_u64_u32 v[1:2], null, s15, s4, v[0:1]
	global_load_u8 v2, v1, s[0:1]
	v_mov_b32_e32 v1, 0x7c
	s_movk_i32 s0, 0x64
.LBB203_1:                              ; =>This Inner Loop Header: Depth=1
	s_waitcnt vmcnt(0) lgkmcnt(0)
	s_barrier
	buffer_gl0_inv
	ds_load_u8 v3, v0 offset:32
	ds_load_u8 v4, v0 offset:64
	;; [unrolled: 1-line block ×7, first 2 shown]
	s_add_i32 s0, s0, -1
	s_delay_alu instid0(SALU_CYCLE_1) | instskip(SKIP_3) | instid1(VALU_DEP_1)
	s_cmp_eq_u32 s0, 0
	s_waitcnt lgkmcnt(6)
	v_add_nc_u16 v2, v3, v2
	s_waitcnt lgkmcnt(5)
	v_add_nc_u16 v2, v2, v4
	s_waitcnt lgkmcnt(4)
	s_delay_alu instid0(VALU_DEP_1) | instskip(SKIP_1) | instid1(VALU_DEP_1)
	v_add_nc_u16 v2, v2, v5
	s_waitcnt lgkmcnt(3)
	v_add_nc_u16 v2, v2, v6
	s_waitcnt lgkmcnt(2)
	s_delay_alu instid0(VALU_DEP_1) | instskip(SKIP_1) | instid1(VALU_DEP_1)
	v_add_nc_u16 v2, v2, v7
	s_waitcnt lgkmcnt(1)
	v_add_nc_u16 v2, v2, v8
	s_waitcnt lgkmcnt(0)
	s_delay_alu instid0(VALU_DEP_1) | instskip(NEXT) | instid1(VALU_DEP_1)
	v_add_nc_u16 v2, v2, v9
	v_and_b32_e32 v3, 0xff, v2
	s_delay_alu instid0(VALU_DEP_1) | instskip(NEXT) | instid1(VALU_DEP_1)
	v_mov_b32_dpp v3, v3 quad_perm:[1,0,3,2] row_mask:0xf bank_mask:0xf
	v_add_nc_u16 v2, v2, v3
	s_delay_alu instid0(VALU_DEP_1) | instskip(NEXT) | instid1(VALU_DEP_1)
	v_and_b32_e32 v3, 0xff, v2
	v_mov_b32_dpp v3, v3 quad_perm:[2,3,0,1] row_mask:0xf bank_mask:0xf
	s_delay_alu instid0(VALU_DEP_1) | instskip(NEXT) | instid1(VALU_DEP_1)
	v_add_nc_u16 v2, v2, v3
	v_and_b32_e32 v3, 0xff, v2
	s_delay_alu instid0(VALU_DEP_1) | instskip(NEXT) | instid1(VALU_DEP_1)
	v_mov_b32_dpp v3, v3 row_ror:4 row_mask:0xf bank_mask:0xf
	v_add_nc_u16 v2, v2, v3
	s_delay_alu instid0(VALU_DEP_1) | instskip(NEXT) | instid1(VALU_DEP_1)
	v_and_b32_e32 v3, 0xff, v2
	v_mov_b32_dpp v3, v3 row_ror:8 row_mask:0xf bank_mask:0xf
	s_delay_alu instid0(VALU_DEP_1) | instskip(NEXT) | instid1(VALU_DEP_1)
	v_add_nc_u16 v2, v2, v3
	v_and_b32_e32 v3, 0xff, v2
	ds_swizzle_b32 v3, v3 offset:swizzle(BROADCAST,32,15)
	s_waitcnt lgkmcnt(0)
	v_add_nc_u16 v2, v2, v3
	s_delay_alu instid0(VALU_DEP_1)
	v_and_b32_e32 v2, 0xff, v2
	ds_bpermute_b32 v2, v1, v2
	s_cbranch_scc0 .LBB203_1
; %bb.2:
	s_mov_b32 s0, exec_lo
	v_cmpx_eq_u32_e32 0, v0
	s_cbranch_execz .LBB203_4
; %bb.3:
	v_mov_b32_e32 v0, s15
	s_waitcnt lgkmcnt(0)
	global_store_b8 v0, v2, s[2:3]
.LBB203_4:
	s_nop 0
	s_sendmsg sendmsg(MSG_DEALLOC_VGPRS)
	s_endpgm
	.section	.rodata,"a",@progbits
	.p2align	6, 0x0
	.amdhsa_kernel _Z6kernelI6reduceILN6hipcub20BlockReduceAlgorithmE2EEhLj256ELj1ELj100EEvPKT0_PS4_
		.amdhsa_group_segment_fixed_size 256
		.amdhsa_private_segment_fixed_size 0
		.amdhsa_kernarg_size 272
		.amdhsa_user_sgpr_count 15
		.amdhsa_user_sgpr_dispatch_ptr 0
		.amdhsa_user_sgpr_queue_ptr 0
		.amdhsa_user_sgpr_kernarg_segment_ptr 1
		.amdhsa_user_sgpr_dispatch_id 0
		.amdhsa_user_sgpr_private_segment_size 0
		.amdhsa_wavefront_size32 1
		.amdhsa_uses_dynamic_stack 0
		.amdhsa_enable_private_segment 0
		.amdhsa_system_sgpr_workgroup_id_x 1
		.amdhsa_system_sgpr_workgroup_id_y 0
		.amdhsa_system_sgpr_workgroup_id_z 0
		.amdhsa_system_sgpr_workgroup_info 0
		.amdhsa_system_vgpr_workitem_id 0
		.amdhsa_next_free_vgpr 10
		.amdhsa_next_free_sgpr 16
		.amdhsa_reserve_vcc 0
		.amdhsa_float_round_mode_32 0
		.amdhsa_float_round_mode_16_64 0
		.amdhsa_float_denorm_mode_32 3
		.amdhsa_float_denorm_mode_16_64 3
		.amdhsa_dx10_clamp 1
		.amdhsa_ieee_mode 1
		.amdhsa_fp16_overflow 0
		.amdhsa_workgroup_processor_mode 1
		.amdhsa_memory_ordered 1
		.amdhsa_forward_progress 0
		.amdhsa_shared_vgpr_count 0
		.amdhsa_exception_fp_ieee_invalid_op 0
		.amdhsa_exception_fp_denorm_src 0
		.amdhsa_exception_fp_ieee_div_zero 0
		.amdhsa_exception_fp_ieee_overflow 0
		.amdhsa_exception_fp_ieee_underflow 0
		.amdhsa_exception_fp_ieee_inexact 0
		.amdhsa_exception_int_div_zero 0
	.end_amdhsa_kernel
	.section	.text._Z6kernelI6reduceILN6hipcub20BlockReduceAlgorithmE2EEhLj256ELj1ELj100EEvPKT0_PS4_,"axG",@progbits,_Z6kernelI6reduceILN6hipcub20BlockReduceAlgorithmE2EEhLj256ELj1ELj100EEvPKT0_PS4_,comdat
.Lfunc_end203:
	.size	_Z6kernelI6reduceILN6hipcub20BlockReduceAlgorithmE2EEhLj256ELj1ELj100EEvPKT0_PS4_, .Lfunc_end203-_Z6kernelI6reduceILN6hipcub20BlockReduceAlgorithmE2EEhLj256ELj1ELj100EEvPKT0_PS4_
                                        ; -- End function
	.section	.AMDGPU.csdata,"",@progbits
; Kernel info:
; codeLenInByte = 456
; NumSgprs: 16
; NumVgprs: 10
; ScratchSize: 0
; MemoryBound: 0
; FloatMode: 240
; IeeeMode: 1
; LDSByteSize: 256 bytes/workgroup (compile time only)
; SGPRBlocks: 1
; VGPRBlocks: 1
; NumSGPRsForWavesPerEU: 16
; NumVGPRsForWavesPerEU: 10
; Occupancy: 16
; WaveLimiterHint : 0
; COMPUTE_PGM_RSRC2:SCRATCH_EN: 0
; COMPUTE_PGM_RSRC2:USER_SGPR: 15
; COMPUTE_PGM_RSRC2:TRAP_HANDLER: 0
; COMPUTE_PGM_RSRC2:TGID_X_EN: 1
; COMPUTE_PGM_RSRC2:TGID_Y_EN: 0
; COMPUTE_PGM_RSRC2:TGID_Z_EN: 0
; COMPUTE_PGM_RSRC2:TIDIG_COMP_CNT: 0
	.section	.text._Z6kernelI6reduceILN6hipcub20BlockReduceAlgorithmE2EEhLj256ELj2ELj100EEvPKT0_PS4_,"axG",@progbits,_Z6kernelI6reduceILN6hipcub20BlockReduceAlgorithmE2EEhLj256ELj2ELj100EEvPKT0_PS4_,comdat
	.protected	_Z6kernelI6reduceILN6hipcub20BlockReduceAlgorithmE2EEhLj256ELj2ELj100EEvPKT0_PS4_ ; -- Begin function _Z6kernelI6reduceILN6hipcub20BlockReduceAlgorithmE2EEhLj256ELj2ELj100EEvPKT0_PS4_
	.globl	_Z6kernelI6reduceILN6hipcub20BlockReduceAlgorithmE2EEhLj256ELj2ELj100EEvPKT0_PS4_
	.p2align	8
	.type	_Z6kernelI6reduceILN6hipcub20BlockReduceAlgorithmE2EEhLj256ELj2ELj100EEvPKT0_PS4_,@function
_Z6kernelI6reduceILN6hipcub20BlockReduceAlgorithmE2EEhLj256ELj2ELj100EEvPKT0_PS4_: ; @_Z6kernelI6reduceILN6hipcub20BlockReduceAlgorithmE2EEhLj256ELj2ELj100EEvPKT0_PS4_
; %bb.0:
	s_clause 0x1
	s_load_b32 s4, s[0:1], 0x1c
	s_load_b128 s[0:3], s[0:1], 0x0
	s_waitcnt lgkmcnt(0)
	s_and_b32 s4, s4, 0xffff
	s_delay_alu instid0(SALU_CYCLE_1) | instskip(NEXT) | instid1(SALU_CYCLE_1)
	s_mul_i32 s4, s15, s4
	v_add_lshl_u32 v1, s4, v0, 1
	global_load_u16 v2, v1, s[0:1]
	v_mov_b32_e32 v1, 0x7c
	s_movk_i32 s0, 0x64
.LBB204_1:                              ; =>This Inner Loop Header: Depth=1
	s_waitcnt vmcnt(0)
	s_barrier
	buffer_gl0_inv
	ds_load_u8 v3, v0 offset:32
	ds_load_u8 v4, v0 offset:64
	v_lshrrev_b16 v5, 8, v2
	ds_load_u8 v6, v0 offset:96
	ds_load_u8 v7, v0 offset:128
	;; [unrolled: 1-line block ×5, first 2 shown]
	s_add_i32 s0, s0, -1
	v_add_nc_u16 v5, v5, v2
	v_and_b32_e32 v2, 0xffffff00, v2
	s_cmp_eq_u32 s0, 0
	s_waitcnt lgkmcnt(6)
	s_delay_alu instid0(VALU_DEP_2) | instskip(SKIP_1) | instid1(VALU_DEP_1)
	v_add_nc_u16 v3, v5, v3
	s_waitcnt lgkmcnt(5)
	v_add_nc_u16 v3, v3, v4
	s_waitcnt lgkmcnt(4)
	s_delay_alu instid0(VALU_DEP_1) | instskip(SKIP_1) | instid1(VALU_DEP_1)
	v_add_nc_u16 v3, v3, v6
	s_waitcnt lgkmcnt(3)
	v_add_nc_u16 v3, v3, v7
	s_waitcnt lgkmcnt(2)
	s_delay_alu instid0(VALU_DEP_1) | instskip(SKIP_1) | instid1(VALU_DEP_1)
	v_add_nc_u16 v3, v3, v8
	s_waitcnt lgkmcnt(1)
	v_add_nc_u16 v3, v3, v9
	s_waitcnt lgkmcnt(0)
	s_delay_alu instid0(VALU_DEP_1) | instskip(NEXT) | instid1(VALU_DEP_1)
	v_add_nc_u16 v3, v3, v10
	v_and_b32_e32 v4, 0xff, v3
	s_delay_alu instid0(VALU_DEP_1) | instskip(NEXT) | instid1(VALU_DEP_1)
	v_mov_b32_dpp v4, v4 quad_perm:[1,0,3,2] row_mask:0xf bank_mask:0xf
	v_add_nc_u16 v3, v3, v4
	s_delay_alu instid0(VALU_DEP_1) | instskip(NEXT) | instid1(VALU_DEP_1)
	v_and_b32_e32 v4, 0xff, v3
	v_mov_b32_dpp v4, v4 quad_perm:[2,3,0,1] row_mask:0xf bank_mask:0xf
	s_delay_alu instid0(VALU_DEP_1) | instskip(NEXT) | instid1(VALU_DEP_1)
	v_add_nc_u16 v3, v3, v4
	v_and_b32_e32 v4, 0xff, v3
	s_delay_alu instid0(VALU_DEP_1) | instskip(NEXT) | instid1(VALU_DEP_1)
	v_mov_b32_dpp v4, v4 row_ror:4 row_mask:0xf bank_mask:0xf
	v_add_nc_u16 v3, v3, v4
	s_delay_alu instid0(VALU_DEP_1) | instskip(NEXT) | instid1(VALU_DEP_1)
	v_and_b32_e32 v4, 0xff, v3
	v_mov_b32_dpp v4, v4 row_ror:8 row_mask:0xf bank_mask:0xf
	s_delay_alu instid0(VALU_DEP_1) | instskip(NEXT) | instid1(VALU_DEP_1)
	v_add_nc_u16 v3, v3, v4
	v_and_b32_e32 v4, 0xff, v3
	ds_swizzle_b32 v4, v4 offset:swizzle(BROADCAST,32,15)
	s_waitcnt lgkmcnt(0)
	v_add_nc_u16 v3, v3, v4
	s_delay_alu instid0(VALU_DEP_1) | instskip(SKIP_3) | instid1(VALU_DEP_1)
	v_and_b32_e32 v3, 0xff, v3
	ds_bpermute_b32 v3, v1, v3
	s_waitcnt lgkmcnt(0)
	v_and_b32_e32 v4, 0xff, v3
	v_or_b32_e32 v2, v4, v2
	s_delay_alu instid0(VALU_DEP_1)
	v_and_b32_e32 v2, 0xffff, v2
	s_cbranch_scc0 .LBB204_1
; %bb.2:
	s_mov_b32 s0, exec_lo
	v_cmpx_eq_u32_e32 0, v0
	s_cbranch_execz .LBB204_4
; %bb.3:
	v_mov_b32_e32 v0, s15
	global_store_b8 v0, v3, s[2:3]
.LBB204_4:
	s_nop 0
	s_sendmsg sendmsg(MSG_DEALLOC_VGPRS)
	s_endpgm
	.section	.rodata,"a",@progbits
	.p2align	6, 0x0
	.amdhsa_kernel _Z6kernelI6reduceILN6hipcub20BlockReduceAlgorithmE2EEhLj256ELj2ELj100EEvPKT0_PS4_
		.amdhsa_group_segment_fixed_size 256
		.amdhsa_private_segment_fixed_size 0
		.amdhsa_kernarg_size 272
		.amdhsa_user_sgpr_count 15
		.amdhsa_user_sgpr_dispatch_ptr 0
		.amdhsa_user_sgpr_queue_ptr 0
		.amdhsa_user_sgpr_kernarg_segment_ptr 1
		.amdhsa_user_sgpr_dispatch_id 0
		.amdhsa_user_sgpr_private_segment_size 0
		.amdhsa_wavefront_size32 1
		.amdhsa_uses_dynamic_stack 0
		.amdhsa_enable_private_segment 0
		.amdhsa_system_sgpr_workgroup_id_x 1
		.amdhsa_system_sgpr_workgroup_id_y 0
		.amdhsa_system_sgpr_workgroup_id_z 0
		.amdhsa_system_sgpr_workgroup_info 0
		.amdhsa_system_vgpr_workitem_id 0
		.amdhsa_next_free_vgpr 11
		.amdhsa_next_free_sgpr 16
		.amdhsa_reserve_vcc 0
		.amdhsa_float_round_mode_32 0
		.amdhsa_float_round_mode_16_64 0
		.amdhsa_float_denorm_mode_32 3
		.amdhsa_float_denorm_mode_16_64 3
		.amdhsa_dx10_clamp 1
		.amdhsa_ieee_mode 1
		.amdhsa_fp16_overflow 0
		.amdhsa_workgroup_processor_mode 1
		.amdhsa_memory_ordered 1
		.amdhsa_forward_progress 0
		.amdhsa_shared_vgpr_count 0
		.amdhsa_exception_fp_ieee_invalid_op 0
		.amdhsa_exception_fp_denorm_src 0
		.amdhsa_exception_fp_ieee_div_zero 0
		.amdhsa_exception_fp_ieee_overflow 0
		.amdhsa_exception_fp_ieee_underflow 0
		.amdhsa_exception_fp_ieee_inexact 0
		.amdhsa_exception_int_div_zero 0
	.end_amdhsa_kernel
	.section	.text._Z6kernelI6reduceILN6hipcub20BlockReduceAlgorithmE2EEhLj256ELj2ELj100EEvPKT0_PS4_,"axG",@progbits,_Z6kernelI6reduceILN6hipcub20BlockReduceAlgorithmE2EEhLj256ELj2ELj100EEvPKT0_PS4_,comdat
.Lfunc_end204:
	.size	_Z6kernelI6reduceILN6hipcub20BlockReduceAlgorithmE2EEhLj256ELj2ELj100EEvPKT0_PS4_, .Lfunc_end204-_Z6kernelI6reduceILN6hipcub20BlockReduceAlgorithmE2EEhLj256ELj2ELj100EEvPKT0_PS4_
                                        ; -- End function
	.section	.AMDGPU.csdata,"",@progbits
; Kernel info:
; codeLenInByte = 508
; NumSgprs: 16
; NumVgprs: 11
; ScratchSize: 0
; MemoryBound: 0
; FloatMode: 240
; IeeeMode: 1
; LDSByteSize: 256 bytes/workgroup (compile time only)
; SGPRBlocks: 1
; VGPRBlocks: 1
; NumSGPRsForWavesPerEU: 16
; NumVGPRsForWavesPerEU: 11
; Occupancy: 16
; WaveLimiterHint : 0
; COMPUTE_PGM_RSRC2:SCRATCH_EN: 0
; COMPUTE_PGM_RSRC2:USER_SGPR: 15
; COMPUTE_PGM_RSRC2:TRAP_HANDLER: 0
; COMPUTE_PGM_RSRC2:TGID_X_EN: 1
; COMPUTE_PGM_RSRC2:TGID_Y_EN: 0
; COMPUTE_PGM_RSRC2:TGID_Z_EN: 0
; COMPUTE_PGM_RSRC2:TIDIG_COMP_CNT: 0
	.section	.text._Z6kernelI6reduceILN6hipcub20BlockReduceAlgorithmE2EEhLj256ELj3ELj100EEvPKT0_PS4_,"axG",@progbits,_Z6kernelI6reduceILN6hipcub20BlockReduceAlgorithmE2EEhLj256ELj3ELj100EEvPKT0_PS4_,comdat
	.protected	_Z6kernelI6reduceILN6hipcub20BlockReduceAlgorithmE2EEhLj256ELj3ELj100EEvPKT0_PS4_ ; -- Begin function _Z6kernelI6reduceILN6hipcub20BlockReduceAlgorithmE2EEhLj256ELj3ELj100EEvPKT0_PS4_
	.globl	_Z6kernelI6reduceILN6hipcub20BlockReduceAlgorithmE2EEhLj256ELj3ELj100EEvPKT0_PS4_
	.p2align	8
	.type	_Z6kernelI6reduceILN6hipcub20BlockReduceAlgorithmE2EEhLj256ELj3ELj100EEvPKT0_PS4_,@function
_Z6kernelI6reduceILN6hipcub20BlockReduceAlgorithmE2EEhLj256ELj3ELj100EEvPKT0_PS4_: ; @_Z6kernelI6reduceILN6hipcub20BlockReduceAlgorithmE2EEhLj256ELj3ELj100EEvPKT0_PS4_
; %bb.0:
	s_clause 0x1
	s_load_b32 s4, s[0:1], 0x1c
	s_load_b128 s[0:3], s[0:1], 0x0
	s_waitcnt lgkmcnt(0)
	s_and_b32 s4, s4, 0xffff
	s_delay_alu instid0(SALU_CYCLE_1) | instskip(NEXT) | instid1(VALU_DEP_1)
	v_mad_u64_u32 v[1:2], null, s15, s4, v[0:1]
	v_lshl_add_u32 v1, v1, 1, v1
	s_delay_alu instid0(VALU_DEP_1)
	v_add_nc_u32_e32 v2, 1, v1
	s_clause 0x1
	global_load_u8 v2, v2, s[0:1]
	global_load_u8 v3, v1, s[0:1]
	v_add_nc_u32_e32 v1, 2, v1
	global_load_u8 v1, v1, s[0:1]
	s_movk_i32 s0, 0x64
	s_waitcnt vmcnt(2)
	v_lshlrev_b16 v2, 8, v2
	s_waitcnt vmcnt(1)
	s_delay_alu instid0(VALU_DEP_1) | instskip(NEXT) | instid1(VALU_DEP_1)
	v_or_b32_e32 v2, v3, v2
	v_and_b32_e32 v2, 0xffff, v2
	s_waitcnt vmcnt(0)
	s_delay_alu instid0(VALU_DEP_1)
	v_lshl_or_b32 v1, v1, 16, v2
	v_mov_b32_e32 v2, 0x7c
.LBB205_1:                              ; =>This Inner Loop Header: Depth=1
	s_barrier
	buffer_gl0_inv
	ds_load_u8 v3, v0 offset:32
	ds_load_u8 v5, v0 offset:64
	;; [unrolled: 1-line block ×4, first 2 shown]
	v_lshrrev_b32_e32 v4, 8, v1
	v_lshrrev_b32_e32 v6, 16, v1
	s_add_i32 s0, s0, -1
	s_delay_alu instid0(SALU_CYCLE_1) | instskip(NEXT) | instid1(VALU_DEP_2)
	s_cmp_eq_u32 s0, 0
	v_add_nc_u16 v8, v4, v1
	v_lshlrev_b16 v4, 8, v4
	s_delay_alu instid0(VALU_DEP_2)
	v_add_nc_u16 v6, v8, v6
	ds_load_u8 v8, v0 offset:160
	ds_load_u8 v10, v0 offset:192
	;; [unrolled: 1-line block ×3, first 2 shown]
	s_waitcnt lgkmcnt(6)
	v_add_nc_u16 v3, v6, v3
	s_waitcnt lgkmcnt(5)
	s_delay_alu instid0(VALU_DEP_1) | instskip(SKIP_1) | instid1(VALU_DEP_1)
	v_add_nc_u16 v3, v3, v5
	s_waitcnt lgkmcnt(4)
	v_add_nc_u16 v3, v3, v7
	s_waitcnt lgkmcnt(3)
	s_delay_alu instid0(VALU_DEP_1) | instskip(SKIP_1) | instid1(VALU_DEP_1)
	v_add_nc_u16 v3, v3, v9
	;; [unrolled: 5-line block ×3, first 2 shown]
	s_waitcnt lgkmcnt(0)
	v_add_nc_u16 v3, v3, v11
	s_delay_alu instid0(VALU_DEP_1) | instskip(NEXT) | instid1(VALU_DEP_1)
	v_and_b32_e32 v5, 0xff, v3
	v_mov_b32_dpp v5, v5 quad_perm:[1,0,3,2] row_mask:0xf bank_mask:0xf
	s_delay_alu instid0(VALU_DEP_1) | instskip(NEXT) | instid1(VALU_DEP_1)
	v_add_nc_u16 v3, v3, v5
	v_and_b32_e32 v5, 0xff, v3
	s_delay_alu instid0(VALU_DEP_1) | instskip(NEXT) | instid1(VALU_DEP_1)
	v_mov_b32_dpp v5, v5 quad_perm:[2,3,0,1] row_mask:0xf bank_mask:0xf
	v_add_nc_u16 v3, v3, v5
	s_delay_alu instid0(VALU_DEP_1) | instskip(NEXT) | instid1(VALU_DEP_1)
	v_and_b32_e32 v5, 0xff, v3
	v_mov_b32_dpp v5, v5 row_ror:4 row_mask:0xf bank_mask:0xf
	s_delay_alu instid0(VALU_DEP_1) | instskip(NEXT) | instid1(VALU_DEP_1)
	v_add_nc_u16 v3, v3, v5
	v_and_b32_e32 v5, 0xff, v3
	s_delay_alu instid0(VALU_DEP_1) | instskip(NEXT) | instid1(VALU_DEP_1)
	v_mov_b32_dpp v5, v5 row_ror:8 row_mask:0xf bank_mask:0xf
	v_add_nc_u16 v3, v3, v5
	s_delay_alu instid0(VALU_DEP_1) | instskip(SKIP_3) | instid1(VALU_DEP_1)
	v_and_b32_e32 v5, 0xff, v3
	ds_swizzle_b32 v5, v5 offset:swizzle(BROADCAST,32,15)
	s_waitcnt lgkmcnt(0)
	v_add_nc_u16 v3, v3, v5
	v_and_b32_e32 v3, 0xff, v3
	ds_bpermute_b32 v3, v2, v3
	s_waitcnt lgkmcnt(0)
	v_and_b32_e32 v5, 0xff, v3
	s_delay_alu instid0(VALU_DEP_1) | instskip(NEXT) | instid1(VALU_DEP_1)
	v_or_b32_e32 v4, v5, v4
	v_and_b32_e32 v4, 0xffff, v4
	s_delay_alu instid0(VALU_DEP_1)
	v_and_or_b32 v1, 0xff0000, v1, v4
	s_cbranch_scc0 .LBB205_1
; %bb.2:
	s_mov_b32 s0, exec_lo
	v_cmpx_eq_u32_e32 0, v0
	s_cbranch_execz .LBB205_4
; %bb.3:
	v_mov_b32_e32 v0, s15
	global_store_b8 v0, v3, s[2:3]
.LBB205_4:
	s_nop 0
	s_sendmsg sendmsg(MSG_DEALLOC_VGPRS)
	s_endpgm
	.section	.rodata,"a",@progbits
	.p2align	6, 0x0
	.amdhsa_kernel _Z6kernelI6reduceILN6hipcub20BlockReduceAlgorithmE2EEhLj256ELj3ELj100EEvPKT0_PS4_
		.amdhsa_group_segment_fixed_size 256
		.amdhsa_private_segment_fixed_size 0
		.amdhsa_kernarg_size 272
		.amdhsa_user_sgpr_count 15
		.amdhsa_user_sgpr_dispatch_ptr 0
		.amdhsa_user_sgpr_queue_ptr 0
		.amdhsa_user_sgpr_kernarg_segment_ptr 1
		.amdhsa_user_sgpr_dispatch_id 0
		.amdhsa_user_sgpr_private_segment_size 0
		.amdhsa_wavefront_size32 1
		.amdhsa_uses_dynamic_stack 0
		.amdhsa_enable_private_segment 0
		.amdhsa_system_sgpr_workgroup_id_x 1
		.amdhsa_system_sgpr_workgroup_id_y 0
		.amdhsa_system_sgpr_workgroup_id_z 0
		.amdhsa_system_sgpr_workgroup_info 0
		.amdhsa_system_vgpr_workitem_id 0
		.amdhsa_next_free_vgpr 12
		.amdhsa_next_free_sgpr 16
		.amdhsa_reserve_vcc 0
		.amdhsa_float_round_mode_32 0
		.amdhsa_float_round_mode_16_64 0
		.amdhsa_float_denorm_mode_32 3
		.amdhsa_float_denorm_mode_16_64 3
		.amdhsa_dx10_clamp 1
		.amdhsa_ieee_mode 1
		.amdhsa_fp16_overflow 0
		.amdhsa_workgroup_processor_mode 1
		.amdhsa_memory_ordered 1
		.amdhsa_forward_progress 0
		.amdhsa_shared_vgpr_count 0
		.amdhsa_exception_fp_ieee_invalid_op 0
		.amdhsa_exception_fp_denorm_src 0
		.amdhsa_exception_fp_ieee_div_zero 0
		.amdhsa_exception_fp_ieee_overflow 0
		.amdhsa_exception_fp_ieee_underflow 0
		.amdhsa_exception_fp_ieee_inexact 0
		.amdhsa_exception_int_div_zero 0
	.end_amdhsa_kernel
	.section	.text._Z6kernelI6reduceILN6hipcub20BlockReduceAlgorithmE2EEhLj256ELj3ELj100EEvPKT0_PS4_,"axG",@progbits,_Z6kernelI6reduceILN6hipcub20BlockReduceAlgorithmE2EEhLj256ELj3ELj100EEvPKT0_PS4_,comdat
.Lfunc_end205:
	.size	_Z6kernelI6reduceILN6hipcub20BlockReduceAlgorithmE2EEhLj256ELj3ELj100EEvPKT0_PS4_, .Lfunc_end205-_Z6kernelI6reduceILN6hipcub20BlockReduceAlgorithmE2EEhLj256ELj3ELj100EEvPKT0_PS4_
                                        ; -- End function
	.section	.AMDGPU.csdata,"",@progbits
; Kernel info:
; codeLenInByte = 616
; NumSgprs: 16
; NumVgprs: 12
; ScratchSize: 0
; MemoryBound: 0
; FloatMode: 240
; IeeeMode: 1
; LDSByteSize: 256 bytes/workgroup (compile time only)
; SGPRBlocks: 1
; VGPRBlocks: 1
; NumSGPRsForWavesPerEU: 16
; NumVGPRsForWavesPerEU: 12
; Occupancy: 16
; WaveLimiterHint : 0
; COMPUTE_PGM_RSRC2:SCRATCH_EN: 0
; COMPUTE_PGM_RSRC2:USER_SGPR: 15
; COMPUTE_PGM_RSRC2:TRAP_HANDLER: 0
; COMPUTE_PGM_RSRC2:TGID_X_EN: 1
; COMPUTE_PGM_RSRC2:TGID_Y_EN: 0
; COMPUTE_PGM_RSRC2:TGID_Z_EN: 0
; COMPUTE_PGM_RSRC2:TIDIG_COMP_CNT: 0
	.section	.text._Z6kernelI6reduceILN6hipcub20BlockReduceAlgorithmE2EEhLj256ELj4ELj100EEvPKT0_PS4_,"axG",@progbits,_Z6kernelI6reduceILN6hipcub20BlockReduceAlgorithmE2EEhLj256ELj4ELj100EEvPKT0_PS4_,comdat
	.protected	_Z6kernelI6reduceILN6hipcub20BlockReduceAlgorithmE2EEhLj256ELj4ELj100EEvPKT0_PS4_ ; -- Begin function _Z6kernelI6reduceILN6hipcub20BlockReduceAlgorithmE2EEhLj256ELj4ELj100EEvPKT0_PS4_
	.globl	_Z6kernelI6reduceILN6hipcub20BlockReduceAlgorithmE2EEhLj256ELj4ELj100EEvPKT0_PS4_
	.p2align	8
	.type	_Z6kernelI6reduceILN6hipcub20BlockReduceAlgorithmE2EEhLj256ELj4ELj100EEvPKT0_PS4_,@function
_Z6kernelI6reduceILN6hipcub20BlockReduceAlgorithmE2EEhLj256ELj4ELj100EEvPKT0_PS4_: ; @_Z6kernelI6reduceILN6hipcub20BlockReduceAlgorithmE2EEhLj256ELj4ELj100EEvPKT0_PS4_
; %bb.0:
	s_clause 0x1
	s_load_b32 s4, s[0:1], 0x1c
	s_load_b128 s[0:3], s[0:1], 0x0
	v_mov_b32_e32 v2, 0x7c
	s_waitcnt lgkmcnt(0)
	s_and_b32 s4, s4, 0xffff
	s_delay_alu instid0(SALU_CYCLE_1) | instskip(NEXT) | instid1(SALU_CYCLE_1)
	s_mul_i32 s4, s15, s4
	v_add_lshl_u32 v1, s4, v0, 2
	global_load_b32 v1, v1, s[0:1]
	s_movk_i32 s0, 0x64
.LBB206_1:                              ; =>This Inner Loop Header: Depth=1
	s_waitcnt vmcnt(0)
	s_delay_alu instid0(VALU_DEP_1)
	v_lshrrev_b32_e32 v3, 8, v1
	s_barrier
	buffer_gl0_inv
	ds_load_u8 v4, v0 offset:32
	ds_load_u8 v6, v0 offset:64
	v_lshrrev_b32_e32 v5, 16, v1
	v_add_nc_u16 v3, v3, v1
	v_lshrrev_b32_e32 v7, 24, v1
	s_add_i32 s0, s0, -1
	s_delay_alu instid0(SALU_CYCLE_1) | instskip(NEXT) | instid1(VALU_DEP_2)
	s_cmp_eq_u32 s0, 0
	v_add_nc_u16 v3, v3, v5
	ds_load_u8 v5, v0 offset:96
	v_add_nc_u16 v3, v3, v7
	ds_load_u8 v7, v0 offset:128
	ds_load_u8 v8, v0 offset:160
	ds_load_u8 v9, v0 offset:192
	ds_load_u8 v10, v0 offset:224
	s_waitcnt lgkmcnt(6)
	v_add_nc_u16 v3, v3, v4
	s_waitcnt lgkmcnt(5)
	s_delay_alu instid0(VALU_DEP_1) | instskip(SKIP_1) | instid1(VALU_DEP_1)
	v_add_nc_u16 v3, v3, v6
	s_waitcnt lgkmcnt(4)
	v_add_nc_u16 v3, v3, v5
	s_waitcnt lgkmcnt(3)
	s_delay_alu instid0(VALU_DEP_1) | instskip(SKIP_1) | instid1(VALU_DEP_1)
	v_add_nc_u16 v3, v3, v7
	;; [unrolled: 5-line block ×3, first 2 shown]
	s_waitcnt lgkmcnt(0)
	v_add_nc_u16 v3, v3, v10
	s_delay_alu instid0(VALU_DEP_1) | instskip(NEXT) | instid1(VALU_DEP_1)
	v_and_b32_e32 v4, 0xff, v3
	v_mov_b32_dpp v4, v4 quad_perm:[1,0,3,2] row_mask:0xf bank_mask:0xf
	s_delay_alu instid0(VALU_DEP_1) | instskip(NEXT) | instid1(VALU_DEP_1)
	v_add_nc_u16 v3, v3, v4
	v_and_b32_e32 v4, 0xff, v3
	s_delay_alu instid0(VALU_DEP_1) | instskip(NEXT) | instid1(VALU_DEP_1)
	v_mov_b32_dpp v4, v4 quad_perm:[2,3,0,1] row_mask:0xf bank_mask:0xf
	v_add_nc_u16 v3, v3, v4
	s_delay_alu instid0(VALU_DEP_1) | instskip(NEXT) | instid1(VALU_DEP_1)
	v_and_b32_e32 v4, 0xff, v3
	v_mov_b32_dpp v4, v4 row_ror:4 row_mask:0xf bank_mask:0xf
	s_delay_alu instid0(VALU_DEP_1) | instskip(NEXT) | instid1(VALU_DEP_1)
	v_add_nc_u16 v3, v3, v4
	v_and_b32_e32 v4, 0xff, v3
	s_delay_alu instid0(VALU_DEP_1) | instskip(NEXT) | instid1(VALU_DEP_1)
	v_mov_b32_dpp v4, v4 row_ror:8 row_mask:0xf bank_mask:0xf
	v_add_nc_u16 v3, v3, v4
	s_delay_alu instid0(VALU_DEP_1) | instskip(SKIP_3) | instid1(VALU_DEP_1)
	v_and_b32_e32 v4, 0xff, v3
	ds_swizzle_b32 v4, v4 offset:swizzle(BROADCAST,32,15)
	s_waitcnt lgkmcnt(0)
	v_add_nc_u16 v3, v3, v4
	v_and_b32_e32 v3, 0xff, v3
	ds_bpermute_b32 v3, v2, v3
	s_waitcnt lgkmcnt(0)
	v_perm_b32 v1, v3, v1, 0x3020104
	s_cbranch_scc0 .LBB206_1
; %bb.2:
	s_mov_b32 s0, exec_lo
	v_cmpx_eq_u32_e32 0, v0
	s_cbranch_execz .LBB206_4
; %bb.3:
	v_mov_b32_e32 v0, s15
	global_store_b8 v0, v3, s[2:3]
.LBB206_4:
	s_nop 0
	s_sendmsg sendmsg(MSG_DEALLOC_VGPRS)
	s_endpgm
	.section	.rodata,"a",@progbits
	.p2align	6, 0x0
	.amdhsa_kernel _Z6kernelI6reduceILN6hipcub20BlockReduceAlgorithmE2EEhLj256ELj4ELj100EEvPKT0_PS4_
		.amdhsa_group_segment_fixed_size 256
		.amdhsa_private_segment_fixed_size 0
		.amdhsa_kernarg_size 272
		.amdhsa_user_sgpr_count 15
		.amdhsa_user_sgpr_dispatch_ptr 0
		.amdhsa_user_sgpr_queue_ptr 0
		.amdhsa_user_sgpr_kernarg_segment_ptr 1
		.amdhsa_user_sgpr_dispatch_id 0
		.amdhsa_user_sgpr_private_segment_size 0
		.amdhsa_wavefront_size32 1
		.amdhsa_uses_dynamic_stack 0
		.amdhsa_enable_private_segment 0
		.amdhsa_system_sgpr_workgroup_id_x 1
		.amdhsa_system_sgpr_workgroup_id_y 0
		.amdhsa_system_sgpr_workgroup_id_z 0
		.amdhsa_system_sgpr_workgroup_info 0
		.amdhsa_system_vgpr_workitem_id 0
		.amdhsa_next_free_vgpr 11
		.amdhsa_next_free_sgpr 16
		.amdhsa_reserve_vcc 0
		.amdhsa_float_round_mode_32 0
		.amdhsa_float_round_mode_16_64 0
		.amdhsa_float_denorm_mode_32 3
		.amdhsa_float_denorm_mode_16_64 3
		.amdhsa_dx10_clamp 1
		.amdhsa_ieee_mode 1
		.amdhsa_fp16_overflow 0
		.amdhsa_workgroup_processor_mode 1
		.amdhsa_memory_ordered 1
		.amdhsa_forward_progress 0
		.amdhsa_shared_vgpr_count 0
		.amdhsa_exception_fp_ieee_invalid_op 0
		.amdhsa_exception_fp_denorm_src 0
		.amdhsa_exception_fp_ieee_div_zero 0
		.amdhsa_exception_fp_ieee_overflow 0
		.amdhsa_exception_fp_ieee_underflow 0
		.amdhsa_exception_fp_ieee_inexact 0
		.amdhsa_exception_int_div_zero 0
	.end_amdhsa_kernel
	.section	.text._Z6kernelI6reduceILN6hipcub20BlockReduceAlgorithmE2EEhLj256ELj4ELj100EEvPKT0_PS4_,"axG",@progbits,_Z6kernelI6reduceILN6hipcub20BlockReduceAlgorithmE2EEhLj256ELj4ELj100EEvPKT0_PS4_,comdat
.Lfunc_end206:
	.size	_Z6kernelI6reduceILN6hipcub20BlockReduceAlgorithmE2EEhLj256ELj4ELj100EEvPKT0_PS4_, .Lfunc_end206-_Z6kernelI6reduceILN6hipcub20BlockReduceAlgorithmE2EEhLj256ELj4ELj100EEvPKT0_PS4_
                                        ; -- End function
	.section	.AMDGPU.csdata,"",@progbits
; Kernel info:
; codeLenInByte = 512
; NumSgprs: 16
; NumVgprs: 11
; ScratchSize: 0
; MemoryBound: 0
; FloatMode: 240
; IeeeMode: 1
; LDSByteSize: 256 bytes/workgroup (compile time only)
; SGPRBlocks: 1
; VGPRBlocks: 1
; NumSGPRsForWavesPerEU: 16
; NumVGPRsForWavesPerEU: 11
; Occupancy: 16
; WaveLimiterHint : 0
; COMPUTE_PGM_RSRC2:SCRATCH_EN: 0
; COMPUTE_PGM_RSRC2:USER_SGPR: 15
; COMPUTE_PGM_RSRC2:TRAP_HANDLER: 0
; COMPUTE_PGM_RSRC2:TGID_X_EN: 1
; COMPUTE_PGM_RSRC2:TGID_Y_EN: 0
; COMPUTE_PGM_RSRC2:TGID_Z_EN: 0
; COMPUTE_PGM_RSRC2:TIDIG_COMP_CNT: 0
	.section	.text._Z6kernelI6reduceILN6hipcub20BlockReduceAlgorithmE2EEhLj256ELj8ELj100EEvPKT0_PS4_,"axG",@progbits,_Z6kernelI6reduceILN6hipcub20BlockReduceAlgorithmE2EEhLj256ELj8ELj100EEvPKT0_PS4_,comdat
	.protected	_Z6kernelI6reduceILN6hipcub20BlockReduceAlgorithmE2EEhLj256ELj8ELj100EEvPKT0_PS4_ ; -- Begin function _Z6kernelI6reduceILN6hipcub20BlockReduceAlgorithmE2EEhLj256ELj8ELj100EEvPKT0_PS4_
	.globl	_Z6kernelI6reduceILN6hipcub20BlockReduceAlgorithmE2EEhLj256ELj8ELj100EEvPKT0_PS4_
	.p2align	8
	.type	_Z6kernelI6reduceILN6hipcub20BlockReduceAlgorithmE2EEhLj256ELj8ELj100EEvPKT0_PS4_,@function
_Z6kernelI6reduceILN6hipcub20BlockReduceAlgorithmE2EEhLj256ELj8ELj100EEvPKT0_PS4_: ; @_Z6kernelI6reduceILN6hipcub20BlockReduceAlgorithmE2EEhLj256ELj8ELj100EEvPKT0_PS4_
; %bb.0:
	s_clause 0x1
	s_load_b32 s4, s[0:1], 0x1c
	s_load_b128 s[0:3], s[0:1], 0x0
	v_mov_b32_e32 v3, 0x7c
	s_waitcnt lgkmcnt(0)
	s_and_b32 s4, s4, 0xffff
	s_delay_alu instid0(SALU_CYCLE_1) | instskip(NEXT) | instid1(SALU_CYCLE_1)
	s_mul_i32 s4, s15, s4
	v_add_lshl_u32 v1, s4, v0, 3
	global_load_b64 v[1:2], v1, s[0:1]
	s_movk_i32 s0, 0x64
.LBB207_1:                              ; =>This Inner Loop Header: Depth=1
	s_waitcnt vmcnt(0)
	s_delay_alu instid0(VALU_DEP_1) | instskip(SKIP_3) | instid1(VALU_DEP_3)
	v_lshrrev_b32_e32 v4, 8, v1
	v_lshrrev_b32_e32 v5, 16, v1
	;; [unrolled: 1-line block ×3, first 2 shown]
	s_barrier
	v_add_nc_u16 v4, v4, v1
	buffer_gl0_inv
	v_lshrrev_b32_e32 v7, 16, v2
	s_add_i32 s0, s0, -1
	ds_load_u8 v8, v0 offset:64
	ds_load_u8 v9, v0 offset:96
	v_add_nc_u16 v4, v4, v5
	v_lshrrev_b32_e32 v5, 8, v2
	s_cmp_eq_u32 s0, 0
	s_delay_alu instid0(VALU_DEP_2) | instskip(SKIP_2) | instid1(VALU_DEP_1)
	v_add_nc_u16 v4, v4, v6
	ds_load_u8 v6, v0 offset:32
	v_add_nc_u16 v4, v4, v2
	v_add_nc_u16 v4, v4, v5
	v_lshrrev_b32_e32 v5, 24, v2
	v_perm_b32 v2, v2, v2, 0x3060504
	s_delay_alu instid0(VALU_DEP_3)
	v_add_nc_u16 v4, v4, v7
	ds_load_u8 v7, v0 offset:128
	v_add_nc_u16 v4, v4, v5
	ds_load_u8 v5, v0 offset:160
	ds_load_u8 v10, v0 offset:192
	;; [unrolled: 1-line block ×3, first 2 shown]
	s_waitcnt lgkmcnt(4)
	v_add_nc_u16 v4, v4, v6
	s_delay_alu instid0(VALU_DEP_1) | instskip(NEXT) | instid1(VALU_DEP_1)
	v_add_nc_u16 v4, v4, v8
	v_add_nc_u16 v4, v4, v9
	s_waitcnt lgkmcnt(3)
	s_delay_alu instid0(VALU_DEP_1) | instskip(SKIP_1) | instid1(VALU_DEP_1)
	v_add_nc_u16 v4, v4, v7
	s_waitcnt lgkmcnt(2)
	v_add_nc_u16 v4, v4, v5
	s_waitcnt lgkmcnt(1)
	s_delay_alu instid0(VALU_DEP_1) | instskip(SKIP_1) | instid1(VALU_DEP_1)
	v_add_nc_u16 v4, v4, v10
	s_waitcnt lgkmcnt(0)
	v_add_nc_u16 v4, v4, v11
	s_delay_alu instid0(VALU_DEP_1) | instskip(NEXT) | instid1(VALU_DEP_1)
	v_and_b32_e32 v5, 0xff, v4
	v_mov_b32_dpp v5, v5 quad_perm:[1,0,3,2] row_mask:0xf bank_mask:0xf
	s_delay_alu instid0(VALU_DEP_1) | instskip(NEXT) | instid1(VALU_DEP_1)
	v_add_nc_u16 v4, v4, v5
	v_and_b32_e32 v5, 0xff, v4
	s_delay_alu instid0(VALU_DEP_1) | instskip(NEXT) | instid1(VALU_DEP_1)
	v_mov_b32_dpp v5, v5 quad_perm:[2,3,0,1] row_mask:0xf bank_mask:0xf
	v_add_nc_u16 v4, v4, v5
	s_delay_alu instid0(VALU_DEP_1) | instskip(NEXT) | instid1(VALU_DEP_1)
	v_and_b32_e32 v5, 0xff, v4
	v_mov_b32_dpp v5, v5 row_ror:4 row_mask:0xf bank_mask:0xf
	s_delay_alu instid0(VALU_DEP_1) | instskip(NEXT) | instid1(VALU_DEP_1)
	v_add_nc_u16 v4, v4, v5
	v_and_b32_e32 v5, 0xff, v4
	s_delay_alu instid0(VALU_DEP_1) | instskip(NEXT) | instid1(VALU_DEP_1)
	v_mov_b32_dpp v5, v5 row_ror:8 row_mask:0xf bank_mask:0xf
	v_add_nc_u16 v4, v4, v5
	s_delay_alu instid0(VALU_DEP_1) | instskip(SKIP_3) | instid1(VALU_DEP_1)
	v_and_b32_e32 v5, 0xff, v4
	ds_swizzle_b32 v5, v5 offset:swizzle(BROADCAST,32,15)
	s_waitcnt lgkmcnt(0)
	v_add_nc_u16 v4, v4, v5
	v_and_b32_e32 v4, 0xff, v4
	ds_bpermute_b32 v4, v3, v4
	s_waitcnt lgkmcnt(0)
	v_perm_b32 v1, v4, v1, 0x3020104
	s_cbranch_scc0 .LBB207_1
; %bb.2:
	s_mov_b32 s0, exec_lo
	v_cmpx_eq_u32_e32 0, v0
	s_cbranch_execz .LBB207_4
; %bb.3:
	v_mov_b32_e32 v0, s15
	global_store_b8 v0, v4, s[2:3]
.LBB207_4:
	s_nop 0
	s_sendmsg sendmsg(MSG_DEALLOC_VGPRS)
	s_endpgm
	.section	.rodata,"a",@progbits
	.p2align	6, 0x0
	.amdhsa_kernel _Z6kernelI6reduceILN6hipcub20BlockReduceAlgorithmE2EEhLj256ELj8ELj100EEvPKT0_PS4_
		.amdhsa_group_segment_fixed_size 256
		.amdhsa_private_segment_fixed_size 0
		.amdhsa_kernarg_size 272
		.amdhsa_user_sgpr_count 15
		.amdhsa_user_sgpr_dispatch_ptr 0
		.amdhsa_user_sgpr_queue_ptr 0
		.amdhsa_user_sgpr_kernarg_segment_ptr 1
		.amdhsa_user_sgpr_dispatch_id 0
		.amdhsa_user_sgpr_private_segment_size 0
		.amdhsa_wavefront_size32 1
		.amdhsa_uses_dynamic_stack 0
		.amdhsa_enable_private_segment 0
		.amdhsa_system_sgpr_workgroup_id_x 1
		.amdhsa_system_sgpr_workgroup_id_y 0
		.amdhsa_system_sgpr_workgroup_id_z 0
		.amdhsa_system_sgpr_workgroup_info 0
		.amdhsa_system_vgpr_workitem_id 0
		.amdhsa_next_free_vgpr 12
		.amdhsa_next_free_sgpr 16
		.amdhsa_reserve_vcc 0
		.amdhsa_float_round_mode_32 0
		.amdhsa_float_round_mode_16_64 0
		.amdhsa_float_denorm_mode_32 3
		.amdhsa_float_denorm_mode_16_64 3
		.amdhsa_dx10_clamp 1
		.amdhsa_ieee_mode 1
		.amdhsa_fp16_overflow 0
		.amdhsa_workgroup_processor_mode 1
		.amdhsa_memory_ordered 1
		.amdhsa_forward_progress 0
		.amdhsa_shared_vgpr_count 0
		.amdhsa_exception_fp_ieee_invalid_op 0
		.amdhsa_exception_fp_denorm_src 0
		.amdhsa_exception_fp_ieee_div_zero 0
		.amdhsa_exception_fp_ieee_overflow 0
		.amdhsa_exception_fp_ieee_underflow 0
		.amdhsa_exception_fp_ieee_inexact 0
		.amdhsa_exception_int_div_zero 0
	.end_amdhsa_kernel
	.section	.text._Z6kernelI6reduceILN6hipcub20BlockReduceAlgorithmE2EEhLj256ELj8ELj100EEvPKT0_PS4_,"axG",@progbits,_Z6kernelI6reduceILN6hipcub20BlockReduceAlgorithmE2EEhLj256ELj8ELj100EEvPKT0_PS4_,comdat
.Lfunc_end207:
	.size	_Z6kernelI6reduceILN6hipcub20BlockReduceAlgorithmE2EEhLj256ELj8ELj100EEvPKT0_PS4_, .Lfunc_end207-_Z6kernelI6reduceILN6hipcub20BlockReduceAlgorithmE2EEhLj256ELj8ELj100EEvPKT0_PS4_
                                        ; -- End function
	.section	.AMDGPU.csdata,"",@progbits
; Kernel info:
; codeLenInByte = 564
; NumSgprs: 16
; NumVgprs: 12
; ScratchSize: 0
; MemoryBound: 0
; FloatMode: 240
; IeeeMode: 1
; LDSByteSize: 256 bytes/workgroup (compile time only)
; SGPRBlocks: 1
; VGPRBlocks: 1
; NumSGPRsForWavesPerEU: 16
; NumVGPRsForWavesPerEU: 12
; Occupancy: 16
; WaveLimiterHint : 0
; COMPUTE_PGM_RSRC2:SCRATCH_EN: 0
; COMPUTE_PGM_RSRC2:USER_SGPR: 15
; COMPUTE_PGM_RSRC2:TRAP_HANDLER: 0
; COMPUTE_PGM_RSRC2:TGID_X_EN: 1
; COMPUTE_PGM_RSRC2:TGID_Y_EN: 0
; COMPUTE_PGM_RSRC2:TGID_Z_EN: 0
; COMPUTE_PGM_RSRC2:TIDIG_COMP_CNT: 0
	.section	.text._Z6kernelI6reduceILN6hipcub20BlockReduceAlgorithmE2EEhLj256ELj11ELj100EEvPKT0_PS4_,"axG",@progbits,_Z6kernelI6reduceILN6hipcub20BlockReduceAlgorithmE2EEhLj256ELj11ELj100EEvPKT0_PS4_,comdat
	.protected	_Z6kernelI6reduceILN6hipcub20BlockReduceAlgorithmE2EEhLj256ELj11ELj100EEvPKT0_PS4_ ; -- Begin function _Z6kernelI6reduceILN6hipcub20BlockReduceAlgorithmE2EEhLj256ELj11ELj100EEvPKT0_PS4_
	.globl	_Z6kernelI6reduceILN6hipcub20BlockReduceAlgorithmE2EEhLj256ELj11ELj100EEvPKT0_PS4_
	.p2align	8
	.type	_Z6kernelI6reduceILN6hipcub20BlockReduceAlgorithmE2EEhLj256ELj11ELj100EEvPKT0_PS4_,@function
_Z6kernelI6reduceILN6hipcub20BlockReduceAlgorithmE2EEhLj256ELj11ELj100EEvPKT0_PS4_: ; @_Z6kernelI6reduceILN6hipcub20BlockReduceAlgorithmE2EEhLj256ELj11ELj100EEvPKT0_PS4_
; %bb.0:
	s_load_b32 s2, s[0:1], 0x1c
	s_waitcnt lgkmcnt(0)
	s_and_b32 s2, s2, 0xffff
	s_delay_alu instid0(SALU_CYCLE_1) | instskip(SKIP_1) | instid1(VALU_DEP_1)
	v_mad_u64_u32 v[1:2], null, s15, s2, v[0:1]
	s_load_b128 s[0:3], s[0:1], 0x0
	v_mul_lo_u32 v1, v1, 11
	s_delay_alu instid0(VALU_DEP_1)
	v_add_nc_u32_e32 v3, 5, v1
	v_add_nc_u32_e32 v4, 7, v1
	;; [unrolled: 1-line block ×5, first 2 shown]
	s_waitcnt lgkmcnt(0)
	s_clause 0x1
	global_load_u8 v8, v3, s[0:1]
	global_load_u8 v4, v4, s[0:1]
	v_add_nc_u32_e32 v7, 6, v1
	v_add_nc_u32_e32 v3, 2, v1
	s_clause 0x5
	global_load_u8 v9, v2, s[0:1]
	global_load_u8 v5, v5, s[0:1]
	;; [unrolled: 1-line block ×6, first 2 shown]
	v_add_nc_u32_e32 v2, 8, v1
	v_add_nc_u32_e32 v3, 9, v1
	;; [unrolled: 1-line block ×3, first 2 shown]
	s_clause 0x2
	global_load_u8 v1, v2, s[0:1]
	global_load_u8 v2, v3, s[0:1]
	;; [unrolled: 1-line block ×3, first 2 shown]
	s_movk_i32 s0, 0x64
	s_waitcnt vmcnt(8)
	v_lshlrev_b16 v9, 8, v9
	v_lshlrev_b16 v8, 8, v8
	v_lshlrev_b16 v4, 8, v4
	s_waitcnt vmcnt(7)
	v_lshlrev_b16 v5, 8, v5
	s_waitcnt vmcnt(6)
	v_or_b32_e32 v6, v6, v8
	s_waitcnt vmcnt(5)
	v_or_b32_e32 v4, v7, v4
	;; [unrolled: 2-line block ×4, first 2 shown]
	v_and_b32_e32 v6, 0xffff, v6
	v_lshlrev_b32_e32 v4, 16, v4
	v_and_b32_e32 v7, 0xffff, v7
	s_delay_alu instid0(VALU_DEP_4) | instskip(NEXT) | instid1(VALU_DEP_3)
	v_dual_mov_b32 v5, 0x7c :: v_dual_lshlrev_b32 v8, 16, v5
	v_or_b32_e32 v4, v6, v4
	s_delay_alu instid0(VALU_DEP_2) | instskip(NEXT) | instid1(VALU_DEP_2)
	v_or_b32_e32 v6, v7, v8
	v_lshrrev_b32_e32 v7, 16, v4
	v_lshrrev_b32_e32 v8, 8, v4
	v_lshrrev_b32_e32 v9, 24, v4
.LBB208_1:                              ; =>This Inner Loop Header: Depth=1
	s_delay_alu instid0(VALU_DEP_1)
	v_lshrrev_b32_e32 v10, 8, v6
	v_lshrrev_b32_e32 v11, 16, v6
	;; [unrolled: 1-line block ×3, first 2 shown]
	s_waitcnt vmcnt(0)
	s_barrier
	v_add_nc_u16 v10, v10, v6
	buffer_gl0_inv
	s_add_i32 s0, s0, -1
	ds_load_u8 v13, v0 offset:96
	s_cmp_eq_u32 s0, 0
	v_add_nc_u16 v10, v10, v11
	ds_load_u8 v11, v0 offset:32
	v_add_nc_u16 v10, v10, v12
	ds_load_u8 v12, v0 offset:64
	ds_load_u8 v14, v0 offset:128
	;; [unrolled: 1-line block ×5, first 2 shown]
	v_add_nc_u16 v10, v10, v4
	s_delay_alu instid0(VALU_DEP_1) | instskip(NEXT) | instid1(VALU_DEP_1)
	v_add_nc_u16 v10, v10, v8
	v_add_nc_u16 v10, v10, v7
	s_delay_alu instid0(VALU_DEP_1) | instskip(NEXT) | instid1(VALU_DEP_1)
	v_add_nc_u16 v10, v10, v9
	;; [unrolled: 3-line block ×3, first 2 shown]
	v_add_nc_u16 v10, v10, v3
	s_waitcnt lgkmcnt(5)
	s_delay_alu instid0(VALU_DEP_1) | instskip(SKIP_1) | instid1(VALU_DEP_1)
	v_add_nc_u16 v10, v10, v11
	s_waitcnt lgkmcnt(4)
	v_add_nc_u16 v10, v10, v12
	s_delay_alu instid0(VALU_DEP_1) | instskip(SKIP_1) | instid1(VALU_DEP_1)
	v_add_nc_u16 v10, v10, v13
	s_waitcnt lgkmcnt(3)
	v_add_nc_u16 v10, v10, v14
	s_waitcnt lgkmcnt(2)
	s_delay_alu instid0(VALU_DEP_1) | instskip(SKIP_1) | instid1(VALU_DEP_1)
	v_add_nc_u16 v10, v10, v15
	s_waitcnt lgkmcnt(1)
	v_add_nc_u16 v10, v10, v16
	s_waitcnt lgkmcnt(0)
	s_delay_alu instid0(VALU_DEP_1) | instskip(NEXT) | instid1(VALU_DEP_1)
	v_add_nc_u16 v10, v10, v17
	v_and_b32_e32 v11, 0xff, v10
	s_delay_alu instid0(VALU_DEP_1) | instskip(NEXT) | instid1(VALU_DEP_1)
	v_mov_b32_dpp v11, v11 quad_perm:[1,0,3,2] row_mask:0xf bank_mask:0xf
	v_add_nc_u16 v10, v10, v11
	s_delay_alu instid0(VALU_DEP_1) | instskip(NEXT) | instid1(VALU_DEP_1)
	v_and_b32_e32 v11, 0xff, v10
	v_mov_b32_dpp v11, v11 quad_perm:[2,3,0,1] row_mask:0xf bank_mask:0xf
	s_delay_alu instid0(VALU_DEP_1) | instskip(NEXT) | instid1(VALU_DEP_1)
	v_add_nc_u16 v10, v10, v11
	v_and_b32_e32 v11, 0xff, v10
	s_delay_alu instid0(VALU_DEP_1) | instskip(NEXT) | instid1(VALU_DEP_1)
	v_mov_b32_dpp v11, v11 row_ror:4 row_mask:0xf bank_mask:0xf
	v_add_nc_u16 v10, v10, v11
	s_delay_alu instid0(VALU_DEP_1) | instskip(NEXT) | instid1(VALU_DEP_1)
	v_and_b32_e32 v11, 0xff, v10
	v_mov_b32_dpp v11, v11 row_ror:8 row_mask:0xf bank_mask:0xf
	s_delay_alu instid0(VALU_DEP_1) | instskip(NEXT) | instid1(VALU_DEP_1)
	v_add_nc_u16 v10, v10, v11
	v_and_b32_e32 v11, 0xff, v10
	ds_swizzle_b32 v11, v11 offset:swizzle(BROADCAST,32,15)
	s_waitcnt lgkmcnt(0)
	v_add_nc_u16 v10, v10, v11
	s_delay_alu instid0(VALU_DEP_1)
	v_and_b32_e32 v10, 0xff, v10
	ds_bpermute_b32 v10, v5, v10
	s_waitcnt lgkmcnt(0)
	v_perm_b32 v6, v10, v6, 0x3020104
	s_cbranch_scc0 .LBB208_1
; %bb.2:
	s_mov_b32 s0, exec_lo
	v_cmpx_eq_u32_e32 0, v0
	s_cbranch_execz .LBB208_4
; %bb.3:
	v_mov_b32_e32 v0, s15
	global_store_b8 v0, v10, s[2:3]
.LBB208_4:
	s_nop 0
	s_sendmsg sendmsg(MSG_DEALLOC_VGPRS)
	s_endpgm
	.section	.rodata,"a",@progbits
	.p2align	6, 0x0
	.amdhsa_kernel _Z6kernelI6reduceILN6hipcub20BlockReduceAlgorithmE2EEhLj256ELj11ELj100EEvPKT0_PS4_
		.amdhsa_group_segment_fixed_size 256
		.amdhsa_private_segment_fixed_size 0
		.amdhsa_kernarg_size 272
		.amdhsa_user_sgpr_count 15
		.amdhsa_user_sgpr_dispatch_ptr 0
		.amdhsa_user_sgpr_queue_ptr 0
		.amdhsa_user_sgpr_kernarg_segment_ptr 1
		.amdhsa_user_sgpr_dispatch_id 0
		.amdhsa_user_sgpr_private_segment_size 0
		.amdhsa_wavefront_size32 1
		.amdhsa_uses_dynamic_stack 0
		.amdhsa_enable_private_segment 0
		.amdhsa_system_sgpr_workgroup_id_x 1
		.amdhsa_system_sgpr_workgroup_id_y 0
		.amdhsa_system_sgpr_workgroup_id_z 0
		.amdhsa_system_sgpr_workgroup_info 0
		.amdhsa_system_vgpr_workitem_id 0
		.amdhsa_next_free_vgpr 18
		.amdhsa_next_free_sgpr 16
		.amdhsa_reserve_vcc 0
		.amdhsa_float_round_mode_32 0
		.amdhsa_float_round_mode_16_64 0
		.amdhsa_float_denorm_mode_32 3
		.amdhsa_float_denorm_mode_16_64 3
		.amdhsa_dx10_clamp 1
		.amdhsa_ieee_mode 1
		.amdhsa_fp16_overflow 0
		.amdhsa_workgroup_processor_mode 1
		.amdhsa_memory_ordered 1
		.amdhsa_forward_progress 0
		.amdhsa_shared_vgpr_count 0
		.amdhsa_exception_fp_ieee_invalid_op 0
		.amdhsa_exception_fp_denorm_src 0
		.amdhsa_exception_fp_ieee_div_zero 0
		.amdhsa_exception_fp_ieee_overflow 0
		.amdhsa_exception_fp_ieee_underflow 0
		.amdhsa_exception_fp_ieee_inexact 0
		.amdhsa_exception_int_div_zero 0
	.end_amdhsa_kernel
	.section	.text._Z6kernelI6reduceILN6hipcub20BlockReduceAlgorithmE2EEhLj256ELj11ELj100EEvPKT0_PS4_,"axG",@progbits,_Z6kernelI6reduceILN6hipcub20BlockReduceAlgorithmE2EEhLj256ELj11ELj100EEvPKT0_PS4_,comdat
.Lfunc_end208:
	.size	_Z6kernelI6reduceILN6hipcub20BlockReduceAlgorithmE2EEhLj256ELj11ELj100EEvPKT0_PS4_, .Lfunc_end208-_Z6kernelI6reduceILN6hipcub20BlockReduceAlgorithmE2EEhLj256ELj11ELj100EEvPKT0_PS4_
                                        ; -- End function
	.section	.AMDGPU.csdata,"",@progbits
; Kernel info:
; codeLenInByte = 840
; NumSgprs: 16
; NumVgprs: 18
; ScratchSize: 0
; MemoryBound: 0
; FloatMode: 240
; IeeeMode: 1
; LDSByteSize: 256 bytes/workgroup (compile time only)
; SGPRBlocks: 1
; VGPRBlocks: 2
; NumSGPRsForWavesPerEU: 16
; NumVGPRsForWavesPerEU: 18
; Occupancy: 16
; WaveLimiterHint : 0
; COMPUTE_PGM_RSRC2:SCRATCH_EN: 0
; COMPUTE_PGM_RSRC2:USER_SGPR: 15
; COMPUTE_PGM_RSRC2:TRAP_HANDLER: 0
; COMPUTE_PGM_RSRC2:TGID_X_EN: 1
; COMPUTE_PGM_RSRC2:TGID_Y_EN: 0
; COMPUTE_PGM_RSRC2:TGID_Z_EN: 0
; COMPUTE_PGM_RSRC2:TIDIG_COMP_CNT: 0
	.section	.text._Z6kernelI6reduceILN6hipcub20BlockReduceAlgorithmE2EEhLj256ELj16ELj100EEvPKT0_PS4_,"axG",@progbits,_Z6kernelI6reduceILN6hipcub20BlockReduceAlgorithmE2EEhLj256ELj16ELj100EEvPKT0_PS4_,comdat
	.protected	_Z6kernelI6reduceILN6hipcub20BlockReduceAlgorithmE2EEhLj256ELj16ELj100EEvPKT0_PS4_ ; -- Begin function _Z6kernelI6reduceILN6hipcub20BlockReduceAlgorithmE2EEhLj256ELj16ELj100EEvPKT0_PS4_
	.globl	_Z6kernelI6reduceILN6hipcub20BlockReduceAlgorithmE2EEhLj256ELj16ELj100EEvPKT0_PS4_
	.p2align	8
	.type	_Z6kernelI6reduceILN6hipcub20BlockReduceAlgorithmE2EEhLj256ELj16ELj100EEvPKT0_PS4_,@function
_Z6kernelI6reduceILN6hipcub20BlockReduceAlgorithmE2EEhLj256ELj16ELj100EEvPKT0_PS4_: ; @_Z6kernelI6reduceILN6hipcub20BlockReduceAlgorithmE2EEhLj256ELj16ELj100EEvPKT0_PS4_
; %bb.0:
	s_clause 0x1
	s_load_b32 s4, s[0:1], 0x1c
	s_load_b128 s[0:3], s[0:1], 0x0
	v_mov_b32_e32 v5, 0x7c
	s_waitcnt lgkmcnt(0)
	s_and_b32 s4, s4, 0xffff
	s_delay_alu instid0(SALU_CYCLE_1) | instskip(NEXT) | instid1(SALU_CYCLE_1)
	s_mul_i32 s4, s15, s4
	v_add_lshl_u32 v1, s4, v0, 4
	global_load_b128 v[1:4], v1, s[0:1]
	s_movk_i32 s0, 0x64
	s_waitcnt vmcnt(0)
	v_lshrrev_b32_e32 v6, 8, v3
	v_lshrrev_b32_e32 v7, 16, v3
	;; [unrolled: 1-line block ×3, first 2 shown]
.LBB209_1:                              ; =>This Inner Loop Header: Depth=1
	s_delay_alu instid0(VALU_DEP_1) | instskip(SKIP_3) | instid1(VALU_DEP_3)
	v_lshrrev_b32_e32 v9, 8, v1
	v_lshrrev_b32_e32 v10, 16, v1
	;; [unrolled: 1-line block ×3, first 2 shown]
	s_barrier
	v_add_nc_u16 v9, v9, v1
	buffer_gl0_inv
	v_lshrrev_b32_e32 v12, 16, v4
	s_add_i32 s0, s0, -1
	ds_load_u8 v13, v0 offset:64
	ds_load_u8 v14, v0 offset:96
	v_add_nc_u16 v9, v9, v10
	v_lshrrev_b32_e32 v10, 8, v2
	s_cmp_eq_u32 s0, 0
	s_delay_alu instid0(VALU_DEP_2) | instskip(SKIP_1) | instid1(VALU_DEP_2)
	v_add_nc_u16 v9, v9, v11
	v_lshrrev_b32_e32 v11, 16, v2
	v_add_nc_u16 v9, v9, v2
	s_delay_alu instid0(VALU_DEP_1) | instskip(SKIP_2) | instid1(VALU_DEP_3)
	v_add_nc_u16 v9, v9, v10
	v_lshrrev_b32_e32 v10, 24, v2
	v_perm_b32 v2, v2, v2, 0x3060504
	v_add_nc_u16 v9, v9, v11
	ds_load_u8 v11, v0 offset:32
	v_add_nc_u16 v9, v9, v10
	v_lshrrev_b32_e32 v10, 8, v4
	s_delay_alu instid0(VALU_DEP_2) | instskip(NEXT) | instid1(VALU_DEP_1)
	v_add_nc_u16 v9, v9, v3
	v_add_nc_u16 v9, v9, v6
	s_delay_alu instid0(VALU_DEP_1) | instskip(NEXT) | instid1(VALU_DEP_1)
	v_add_nc_u16 v9, v9, v7
	v_add_nc_u16 v9, v9, v8
	s_delay_alu instid0(VALU_DEP_1) | instskip(NEXT) | instid1(VALU_DEP_1)
	v_add_nc_u16 v9, v9, v4
	v_add_nc_u16 v9, v9, v10
	v_lshrrev_b32_e32 v10, 24, v4
	v_perm_b32 v4, v4, v4, 0x3060504
	s_delay_alu instid0(VALU_DEP_3)
	v_add_nc_u16 v9, v9, v12
	ds_load_u8 v12, v0 offset:128
	v_add_nc_u16 v9, v9, v10
	ds_load_u8 v10, v0 offset:160
	ds_load_u8 v15, v0 offset:192
	;; [unrolled: 1-line block ×3, first 2 shown]
	s_waitcnt lgkmcnt(4)
	v_add_nc_u16 v9, v9, v11
	s_delay_alu instid0(VALU_DEP_1) | instskip(NEXT) | instid1(VALU_DEP_1)
	v_add_nc_u16 v9, v9, v13
	v_add_nc_u16 v9, v9, v14
	s_waitcnt lgkmcnt(3)
	s_delay_alu instid0(VALU_DEP_1) | instskip(SKIP_1) | instid1(VALU_DEP_1)
	v_add_nc_u16 v9, v9, v12
	s_waitcnt lgkmcnt(2)
	v_add_nc_u16 v9, v9, v10
	s_waitcnt lgkmcnt(1)
	s_delay_alu instid0(VALU_DEP_1) | instskip(SKIP_1) | instid1(VALU_DEP_1)
	v_add_nc_u16 v9, v9, v15
	s_waitcnt lgkmcnt(0)
	v_add_nc_u16 v9, v9, v16
	s_delay_alu instid0(VALU_DEP_1) | instskip(NEXT) | instid1(VALU_DEP_1)
	v_and_b32_e32 v10, 0xff, v9
	v_mov_b32_dpp v10, v10 quad_perm:[1,0,3,2] row_mask:0xf bank_mask:0xf
	s_delay_alu instid0(VALU_DEP_1) | instskip(NEXT) | instid1(VALU_DEP_1)
	v_add_nc_u16 v9, v9, v10
	v_and_b32_e32 v10, 0xff, v9
	s_delay_alu instid0(VALU_DEP_1) | instskip(NEXT) | instid1(VALU_DEP_1)
	v_mov_b32_dpp v10, v10 quad_perm:[2,3,0,1] row_mask:0xf bank_mask:0xf
	v_add_nc_u16 v9, v9, v10
	s_delay_alu instid0(VALU_DEP_1) | instskip(NEXT) | instid1(VALU_DEP_1)
	v_and_b32_e32 v10, 0xff, v9
	v_mov_b32_dpp v10, v10 row_ror:4 row_mask:0xf bank_mask:0xf
	s_delay_alu instid0(VALU_DEP_1) | instskip(NEXT) | instid1(VALU_DEP_1)
	v_add_nc_u16 v9, v9, v10
	v_and_b32_e32 v10, 0xff, v9
	s_delay_alu instid0(VALU_DEP_1) | instskip(NEXT) | instid1(VALU_DEP_1)
	v_mov_b32_dpp v10, v10 row_ror:8 row_mask:0xf bank_mask:0xf
	v_add_nc_u16 v9, v9, v10
	s_delay_alu instid0(VALU_DEP_1) | instskip(SKIP_3) | instid1(VALU_DEP_1)
	v_and_b32_e32 v10, 0xff, v9
	ds_swizzle_b32 v10, v10 offset:swizzle(BROADCAST,32,15)
	s_waitcnt lgkmcnt(0)
	v_add_nc_u16 v9, v9, v10
	v_and_b32_e32 v9, 0xff, v9
	ds_bpermute_b32 v9, v5, v9
	s_waitcnt lgkmcnt(0)
	v_perm_b32 v1, v9, v1, 0x3020104
	s_cbranch_scc0 .LBB209_1
; %bb.2:
	s_mov_b32 s0, exec_lo
	v_cmpx_eq_u32_e32 0, v0
	s_cbranch_execz .LBB209_4
; %bb.3:
	v_mov_b32_e32 v0, s15
	global_store_b8 v0, v9, s[2:3]
.LBB209_4:
	s_nop 0
	s_sendmsg sendmsg(MSG_DEALLOC_VGPRS)
	s_endpgm
	.section	.rodata,"a",@progbits
	.p2align	6, 0x0
	.amdhsa_kernel _Z6kernelI6reduceILN6hipcub20BlockReduceAlgorithmE2EEhLj256ELj16ELj100EEvPKT0_PS4_
		.amdhsa_group_segment_fixed_size 256
		.amdhsa_private_segment_fixed_size 0
		.amdhsa_kernarg_size 272
		.amdhsa_user_sgpr_count 15
		.amdhsa_user_sgpr_dispatch_ptr 0
		.amdhsa_user_sgpr_queue_ptr 0
		.amdhsa_user_sgpr_kernarg_segment_ptr 1
		.amdhsa_user_sgpr_dispatch_id 0
		.amdhsa_user_sgpr_private_segment_size 0
		.amdhsa_wavefront_size32 1
		.amdhsa_uses_dynamic_stack 0
		.amdhsa_enable_private_segment 0
		.amdhsa_system_sgpr_workgroup_id_x 1
		.amdhsa_system_sgpr_workgroup_id_y 0
		.amdhsa_system_sgpr_workgroup_id_z 0
		.amdhsa_system_sgpr_workgroup_info 0
		.amdhsa_system_vgpr_workitem_id 0
		.amdhsa_next_free_vgpr 17
		.amdhsa_next_free_sgpr 16
		.amdhsa_reserve_vcc 0
		.amdhsa_float_round_mode_32 0
		.amdhsa_float_round_mode_16_64 0
		.amdhsa_float_denorm_mode_32 3
		.amdhsa_float_denorm_mode_16_64 3
		.amdhsa_dx10_clamp 1
		.amdhsa_ieee_mode 1
		.amdhsa_fp16_overflow 0
		.amdhsa_workgroup_processor_mode 1
		.amdhsa_memory_ordered 1
		.amdhsa_forward_progress 0
		.amdhsa_shared_vgpr_count 0
		.amdhsa_exception_fp_ieee_invalid_op 0
		.amdhsa_exception_fp_denorm_src 0
		.amdhsa_exception_fp_ieee_div_zero 0
		.amdhsa_exception_fp_ieee_overflow 0
		.amdhsa_exception_fp_ieee_underflow 0
		.amdhsa_exception_fp_ieee_inexact 0
		.amdhsa_exception_int_div_zero 0
	.end_amdhsa_kernel
	.section	.text._Z6kernelI6reduceILN6hipcub20BlockReduceAlgorithmE2EEhLj256ELj16ELj100EEvPKT0_PS4_,"axG",@progbits,_Z6kernelI6reduceILN6hipcub20BlockReduceAlgorithmE2EEhLj256ELj16ELj100EEvPKT0_PS4_,comdat
.Lfunc_end209:
	.size	_Z6kernelI6reduceILN6hipcub20BlockReduceAlgorithmE2EEhLj256ELj16ELj100EEvPKT0_PS4_, .Lfunc_end209-_Z6kernelI6reduceILN6hipcub20BlockReduceAlgorithmE2EEhLj256ELj16ELj100EEvPKT0_PS4_
                                        ; -- End function
	.section	.AMDGPU.csdata,"",@progbits
; Kernel info:
; codeLenInByte = 680
; NumSgprs: 16
; NumVgprs: 17
; ScratchSize: 0
; MemoryBound: 0
; FloatMode: 240
; IeeeMode: 1
; LDSByteSize: 256 bytes/workgroup (compile time only)
; SGPRBlocks: 1
; VGPRBlocks: 2
; NumSGPRsForWavesPerEU: 16
; NumVGPRsForWavesPerEU: 17
; Occupancy: 16
; WaveLimiterHint : 0
; COMPUTE_PGM_RSRC2:SCRATCH_EN: 0
; COMPUTE_PGM_RSRC2:USER_SGPR: 15
; COMPUTE_PGM_RSRC2:TRAP_HANDLER: 0
; COMPUTE_PGM_RSRC2:TGID_X_EN: 1
; COMPUTE_PGM_RSRC2:TGID_Y_EN: 0
; COMPUTE_PGM_RSRC2:TGID_Z_EN: 0
; COMPUTE_PGM_RSRC2:TIDIG_COMP_CNT: 0
	.text
	.p2alignl 7, 3214868480
	.fill 96, 4, 3214868480
	.type	__hip_cuid_5100a736fdfc4cec,@object ; @__hip_cuid_5100a736fdfc4cec
	.section	.bss,"aw",@nobits
	.globl	__hip_cuid_5100a736fdfc4cec
__hip_cuid_5100a736fdfc4cec:
	.byte	0                               ; 0x0
	.size	__hip_cuid_5100a736fdfc4cec, 1

	.ident	"AMD clang version 19.0.0git (https://github.com/RadeonOpenCompute/llvm-project roc-6.4.0 25133 c7fe45cf4b819c5991fe208aaa96edf142730f1d)"
	.section	".note.GNU-stack","",@progbits
	.addrsig
	.addrsig_sym __hip_cuid_5100a736fdfc4cec
	.amdgpu_metadata
---
amdhsa.kernels:
  - .args:
      - .address_space:  global
        .offset:         0
        .size:           8
        .value_kind:     global_buffer
      - .address_space:  global
        .offset:         8
        .size:           8
        .value_kind:     global_buffer
      - .offset:         16
        .size:           4
        .value_kind:     hidden_block_count_x
      - .offset:         20
        .size:           4
        .value_kind:     hidden_block_count_y
      - .offset:         24
        .size:           4
        .value_kind:     hidden_block_count_z
      - .offset:         28
        .size:           2
        .value_kind:     hidden_group_size_x
      - .offset:         30
        .size:           2
        .value_kind:     hidden_group_size_y
      - .offset:         32
        .size:           2
        .value_kind:     hidden_group_size_z
      - .offset:         34
        .size:           2
        .value_kind:     hidden_remainder_x
      - .offset:         36
        .size:           2
        .value_kind:     hidden_remainder_y
      - .offset:         38
        .size:           2
        .value_kind:     hidden_remainder_z
      - .offset:         56
        .size:           8
        .value_kind:     hidden_global_offset_x
      - .offset:         64
        .size:           8
        .value_kind:     hidden_global_offset_y
      - .offset:         72
        .size:           8
        .value_kind:     hidden_global_offset_z
      - .offset:         80
        .size:           2
        .value_kind:     hidden_grid_dims
    .group_segment_fixed_size: 8
    .kernarg_segment_align: 8
    .kernarg_segment_size: 272
    .language:       OpenCL C
    .language_version:
      - 2
      - 0
    .max_flat_workgroup_size: 64
    .name:           _Z6kernelI6reduceILN6hipcub20BlockReduceAlgorithmE0EEiLj64ELj1ELj100EEvPKT0_PS4_
    .private_segment_fixed_size: 0
    .sgpr_count:     18
    .sgpr_spill_count: 0
    .symbol:         _Z6kernelI6reduceILN6hipcub20BlockReduceAlgorithmE0EEiLj64ELj1ELj100EEvPKT0_PS4_.kd
    .uniform_work_group_size: 1
    .uses_dynamic_stack: false
    .vgpr_count:     7
    .vgpr_spill_count: 0
    .wavefront_size: 32
    .workgroup_processor_mode: 1
  - .args:
      - .address_space:  global
        .offset:         0
        .size:           8
        .value_kind:     global_buffer
      - .address_space:  global
        .offset:         8
        .size:           8
        .value_kind:     global_buffer
      - .offset:         16
        .size:           4
        .value_kind:     hidden_block_count_x
      - .offset:         20
        .size:           4
        .value_kind:     hidden_block_count_y
      - .offset:         24
        .size:           4
        .value_kind:     hidden_block_count_z
      - .offset:         28
        .size:           2
        .value_kind:     hidden_group_size_x
      - .offset:         30
        .size:           2
        .value_kind:     hidden_group_size_y
      - .offset:         32
        .size:           2
        .value_kind:     hidden_group_size_z
      - .offset:         34
        .size:           2
        .value_kind:     hidden_remainder_x
      - .offset:         36
        .size:           2
        .value_kind:     hidden_remainder_y
      - .offset:         38
        .size:           2
        .value_kind:     hidden_remainder_z
      - .offset:         56
        .size:           8
        .value_kind:     hidden_global_offset_x
      - .offset:         64
        .size:           8
        .value_kind:     hidden_global_offset_y
      - .offset:         72
        .size:           8
        .value_kind:     hidden_global_offset_z
      - .offset:         80
        .size:           2
        .value_kind:     hidden_grid_dims
    .group_segment_fixed_size: 8
    .kernarg_segment_align: 8
    .kernarg_segment_size: 272
    .language:       OpenCL C
    .language_version:
      - 2
      - 0
    .max_flat_workgroup_size: 64
    .name:           _Z6kernelI6reduceILN6hipcub20BlockReduceAlgorithmE0EEiLj64ELj2ELj100EEvPKT0_PS4_
    .private_segment_fixed_size: 0
    .sgpr_count:     18
    .sgpr_spill_count: 0
    .symbol:         _Z6kernelI6reduceILN6hipcub20BlockReduceAlgorithmE0EEiLj64ELj2ELj100EEvPKT0_PS4_.kd
    .uniform_work_group_size: 1
    .uses_dynamic_stack: false
    .vgpr_count:     8
    .vgpr_spill_count: 0
    .wavefront_size: 32
    .workgroup_processor_mode: 1
  - .args:
      - .address_space:  global
        .offset:         0
        .size:           8
        .value_kind:     global_buffer
      - .address_space:  global
        .offset:         8
        .size:           8
        .value_kind:     global_buffer
      - .offset:         16
        .size:           4
        .value_kind:     hidden_block_count_x
      - .offset:         20
        .size:           4
        .value_kind:     hidden_block_count_y
      - .offset:         24
        .size:           4
        .value_kind:     hidden_block_count_z
      - .offset:         28
        .size:           2
        .value_kind:     hidden_group_size_x
      - .offset:         30
        .size:           2
        .value_kind:     hidden_group_size_y
      - .offset:         32
        .size:           2
        .value_kind:     hidden_group_size_z
      - .offset:         34
        .size:           2
        .value_kind:     hidden_remainder_x
      - .offset:         36
        .size:           2
        .value_kind:     hidden_remainder_y
      - .offset:         38
        .size:           2
        .value_kind:     hidden_remainder_z
      - .offset:         56
        .size:           8
        .value_kind:     hidden_global_offset_x
      - .offset:         64
        .size:           8
        .value_kind:     hidden_global_offset_y
      - .offset:         72
        .size:           8
        .value_kind:     hidden_global_offset_z
      - .offset:         80
        .size:           2
        .value_kind:     hidden_grid_dims
    .group_segment_fixed_size: 8
    .kernarg_segment_align: 8
    .kernarg_segment_size: 272
    .language:       OpenCL C
    .language_version:
      - 2
      - 0
    .max_flat_workgroup_size: 64
    .name:           _Z6kernelI6reduceILN6hipcub20BlockReduceAlgorithmE0EEiLj64ELj3ELj100EEvPKT0_PS4_
    .private_segment_fixed_size: 0
    .sgpr_count:     18
    .sgpr_spill_count: 0
    .symbol:         _Z6kernelI6reduceILN6hipcub20BlockReduceAlgorithmE0EEiLj64ELj3ELj100EEvPKT0_PS4_.kd
    .uniform_work_group_size: 1
    .uses_dynamic_stack: false
    .vgpr_count:     9
    .vgpr_spill_count: 0
    .wavefront_size: 32
    .workgroup_processor_mode: 1
  - .args:
      - .address_space:  global
        .offset:         0
        .size:           8
        .value_kind:     global_buffer
      - .address_space:  global
        .offset:         8
        .size:           8
        .value_kind:     global_buffer
      - .offset:         16
        .size:           4
        .value_kind:     hidden_block_count_x
      - .offset:         20
        .size:           4
        .value_kind:     hidden_block_count_y
      - .offset:         24
        .size:           4
        .value_kind:     hidden_block_count_z
      - .offset:         28
        .size:           2
        .value_kind:     hidden_group_size_x
      - .offset:         30
        .size:           2
        .value_kind:     hidden_group_size_y
      - .offset:         32
        .size:           2
        .value_kind:     hidden_group_size_z
      - .offset:         34
        .size:           2
        .value_kind:     hidden_remainder_x
      - .offset:         36
        .size:           2
        .value_kind:     hidden_remainder_y
      - .offset:         38
        .size:           2
        .value_kind:     hidden_remainder_z
      - .offset:         56
        .size:           8
        .value_kind:     hidden_global_offset_x
      - .offset:         64
        .size:           8
        .value_kind:     hidden_global_offset_y
      - .offset:         72
        .size:           8
        .value_kind:     hidden_global_offset_z
      - .offset:         80
        .size:           2
        .value_kind:     hidden_grid_dims
    .group_segment_fixed_size: 8
    .kernarg_segment_align: 8
    .kernarg_segment_size: 272
    .language:       OpenCL C
    .language_version:
      - 2
      - 0
    .max_flat_workgroup_size: 64
    .name:           _Z6kernelI6reduceILN6hipcub20BlockReduceAlgorithmE0EEiLj64ELj4ELj100EEvPKT0_PS4_
    .private_segment_fixed_size: 0
    .sgpr_count:     18
    .sgpr_spill_count: 0
    .symbol:         _Z6kernelI6reduceILN6hipcub20BlockReduceAlgorithmE0EEiLj64ELj4ELj100EEvPKT0_PS4_.kd
    .uniform_work_group_size: 1
    .uses_dynamic_stack: false
    .vgpr_count:     10
    .vgpr_spill_count: 0
    .wavefront_size: 32
    .workgroup_processor_mode: 1
  - .args:
      - .address_space:  global
        .offset:         0
        .size:           8
        .value_kind:     global_buffer
      - .address_space:  global
        .offset:         8
        .size:           8
        .value_kind:     global_buffer
      - .offset:         16
        .size:           4
        .value_kind:     hidden_block_count_x
      - .offset:         20
        .size:           4
        .value_kind:     hidden_block_count_y
      - .offset:         24
        .size:           4
        .value_kind:     hidden_block_count_z
      - .offset:         28
        .size:           2
        .value_kind:     hidden_group_size_x
      - .offset:         30
        .size:           2
        .value_kind:     hidden_group_size_y
      - .offset:         32
        .size:           2
        .value_kind:     hidden_group_size_z
      - .offset:         34
        .size:           2
        .value_kind:     hidden_remainder_x
      - .offset:         36
        .size:           2
        .value_kind:     hidden_remainder_y
      - .offset:         38
        .size:           2
        .value_kind:     hidden_remainder_z
      - .offset:         56
        .size:           8
        .value_kind:     hidden_global_offset_x
      - .offset:         64
        .size:           8
        .value_kind:     hidden_global_offset_y
      - .offset:         72
        .size:           8
        .value_kind:     hidden_global_offset_z
      - .offset:         80
        .size:           2
        .value_kind:     hidden_grid_dims
    .group_segment_fixed_size: 8
    .kernarg_segment_align: 8
    .kernarg_segment_size: 272
    .language:       OpenCL C
    .language_version:
      - 2
      - 0
    .max_flat_workgroup_size: 64
    .name:           _Z6kernelI6reduceILN6hipcub20BlockReduceAlgorithmE0EEiLj64ELj8ELj100EEvPKT0_PS4_
    .private_segment_fixed_size: 0
    .sgpr_count:     18
    .sgpr_spill_count: 0
    .symbol:         _Z6kernelI6reduceILN6hipcub20BlockReduceAlgorithmE0EEiLj64ELj8ELj100EEvPKT0_PS4_.kd
    .uniform_work_group_size: 1
    .uses_dynamic_stack: false
    .vgpr_count:     14
    .vgpr_spill_count: 0
    .wavefront_size: 32
    .workgroup_processor_mode: 1
  - .args:
      - .address_space:  global
        .offset:         0
        .size:           8
        .value_kind:     global_buffer
      - .address_space:  global
        .offset:         8
        .size:           8
        .value_kind:     global_buffer
      - .offset:         16
        .size:           4
        .value_kind:     hidden_block_count_x
      - .offset:         20
        .size:           4
        .value_kind:     hidden_block_count_y
      - .offset:         24
        .size:           4
        .value_kind:     hidden_block_count_z
      - .offset:         28
        .size:           2
        .value_kind:     hidden_group_size_x
      - .offset:         30
        .size:           2
        .value_kind:     hidden_group_size_y
      - .offset:         32
        .size:           2
        .value_kind:     hidden_group_size_z
      - .offset:         34
        .size:           2
        .value_kind:     hidden_remainder_x
      - .offset:         36
        .size:           2
        .value_kind:     hidden_remainder_y
      - .offset:         38
        .size:           2
        .value_kind:     hidden_remainder_z
      - .offset:         56
        .size:           8
        .value_kind:     hidden_global_offset_x
      - .offset:         64
        .size:           8
        .value_kind:     hidden_global_offset_y
      - .offset:         72
        .size:           8
        .value_kind:     hidden_global_offset_z
      - .offset:         80
        .size:           2
        .value_kind:     hidden_grid_dims
    .group_segment_fixed_size: 8
    .kernarg_segment_align: 8
    .kernarg_segment_size: 272
    .language:       OpenCL C
    .language_version:
      - 2
      - 0
    .max_flat_workgroup_size: 64
    .name:           _Z6kernelI6reduceILN6hipcub20BlockReduceAlgorithmE0EEiLj64ELj11ELj100EEvPKT0_PS4_
    .private_segment_fixed_size: 0
    .sgpr_count:     18
    .sgpr_spill_count: 0
    .symbol:         _Z6kernelI6reduceILN6hipcub20BlockReduceAlgorithmE0EEiLj64ELj11ELj100EEvPKT0_PS4_.kd
    .uniform_work_group_size: 1
    .uses_dynamic_stack: false
    .vgpr_count:     25
    .vgpr_spill_count: 0
    .wavefront_size: 32
    .workgroup_processor_mode: 1
  - .args:
      - .address_space:  global
        .offset:         0
        .size:           8
        .value_kind:     global_buffer
      - .address_space:  global
        .offset:         8
        .size:           8
        .value_kind:     global_buffer
      - .offset:         16
        .size:           4
        .value_kind:     hidden_block_count_x
      - .offset:         20
        .size:           4
        .value_kind:     hidden_block_count_y
      - .offset:         24
        .size:           4
        .value_kind:     hidden_block_count_z
      - .offset:         28
        .size:           2
        .value_kind:     hidden_group_size_x
      - .offset:         30
        .size:           2
        .value_kind:     hidden_group_size_y
      - .offset:         32
        .size:           2
        .value_kind:     hidden_group_size_z
      - .offset:         34
        .size:           2
        .value_kind:     hidden_remainder_x
      - .offset:         36
        .size:           2
        .value_kind:     hidden_remainder_y
      - .offset:         38
        .size:           2
        .value_kind:     hidden_remainder_z
      - .offset:         56
        .size:           8
        .value_kind:     hidden_global_offset_x
      - .offset:         64
        .size:           8
        .value_kind:     hidden_global_offset_y
      - .offset:         72
        .size:           8
        .value_kind:     hidden_global_offset_z
      - .offset:         80
        .size:           2
        .value_kind:     hidden_grid_dims
    .group_segment_fixed_size: 8
    .kernarg_segment_align: 8
    .kernarg_segment_size: 272
    .language:       OpenCL C
    .language_version:
      - 2
      - 0
    .max_flat_workgroup_size: 64
    .name:           _Z6kernelI6reduceILN6hipcub20BlockReduceAlgorithmE0EEiLj64ELj16ELj100EEvPKT0_PS4_
    .private_segment_fixed_size: 0
    .sgpr_count:     18
    .sgpr_spill_count: 0
    .symbol:         _Z6kernelI6reduceILN6hipcub20BlockReduceAlgorithmE0EEiLj64ELj16ELj100EEvPKT0_PS4_.kd
    .uniform_work_group_size: 1
    .uses_dynamic_stack: false
    .vgpr_count:     17
    .vgpr_spill_count: 0
    .wavefront_size: 32
    .workgroup_processor_mode: 1
  - .args:
      - .address_space:  global
        .offset:         0
        .size:           8
        .value_kind:     global_buffer
      - .address_space:  global
        .offset:         8
        .size:           8
        .value_kind:     global_buffer
      - .offset:         16
        .size:           4
        .value_kind:     hidden_block_count_x
      - .offset:         20
        .size:           4
        .value_kind:     hidden_block_count_y
      - .offset:         24
        .size:           4
        .value_kind:     hidden_block_count_z
      - .offset:         28
        .size:           2
        .value_kind:     hidden_group_size_x
      - .offset:         30
        .size:           2
        .value_kind:     hidden_group_size_y
      - .offset:         32
        .size:           2
        .value_kind:     hidden_group_size_z
      - .offset:         34
        .size:           2
        .value_kind:     hidden_remainder_x
      - .offset:         36
        .size:           2
        .value_kind:     hidden_remainder_y
      - .offset:         38
        .size:           2
        .value_kind:     hidden_remainder_z
      - .offset:         56
        .size:           8
        .value_kind:     hidden_global_offset_x
      - .offset:         64
        .size:           8
        .value_kind:     hidden_global_offset_y
      - .offset:         72
        .size:           8
        .value_kind:     hidden_global_offset_z
      - .offset:         80
        .size:           2
        .value_kind:     hidden_grid_dims
    .group_segment_fixed_size: 8
    .kernarg_segment_align: 8
    .kernarg_segment_size: 272
    .language:       OpenCL C
    .language_version:
      - 2
      - 0
    .max_flat_workgroup_size: 64
    .name:           _Z6kernelI6reduceILN6hipcub20BlockReduceAlgorithmE0EEfLj64ELj1ELj100EEvPKT0_PS4_
    .private_segment_fixed_size: 0
    .sgpr_count:     18
    .sgpr_spill_count: 0
    .symbol:         _Z6kernelI6reduceILN6hipcub20BlockReduceAlgorithmE0EEfLj64ELj1ELj100EEvPKT0_PS4_.kd
    .uniform_work_group_size: 1
    .uses_dynamic_stack: false
    .vgpr_count:     7
    .vgpr_spill_count: 0
    .wavefront_size: 32
    .workgroup_processor_mode: 1
  - .args:
      - .address_space:  global
        .offset:         0
        .size:           8
        .value_kind:     global_buffer
      - .address_space:  global
        .offset:         8
        .size:           8
        .value_kind:     global_buffer
      - .offset:         16
        .size:           4
        .value_kind:     hidden_block_count_x
      - .offset:         20
        .size:           4
        .value_kind:     hidden_block_count_y
      - .offset:         24
        .size:           4
        .value_kind:     hidden_block_count_z
      - .offset:         28
        .size:           2
        .value_kind:     hidden_group_size_x
      - .offset:         30
        .size:           2
        .value_kind:     hidden_group_size_y
      - .offset:         32
        .size:           2
        .value_kind:     hidden_group_size_z
      - .offset:         34
        .size:           2
        .value_kind:     hidden_remainder_x
      - .offset:         36
        .size:           2
        .value_kind:     hidden_remainder_y
      - .offset:         38
        .size:           2
        .value_kind:     hidden_remainder_z
      - .offset:         56
        .size:           8
        .value_kind:     hidden_global_offset_x
      - .offset:         64
        .size:           8
        .value_kind:     hidden_global_offset_y
      - .offset:         72
        .size:           8
        .value_kind:     hidden_global_offset_z
      - .offset:         80
        .size:           2
        .value_kind:     hidden_grid_dims
    .group_segment_fixed_size: 8
    .kernarg_segment_align: 8
    .kernarg_segment_size: 272
    .language:       OpenCL C
    .language_version:
      - 2
      - 0
    .max_flat_workgroup_size: 64
    .name:           _Z6kernelI6reduceILN6hipcub20BlockReduceAlgorithmE0EEfLj64ELj2ELj100EEvPKT0_PS4_
    .private_segment_fixed_size: 0
    .sgpr_count:     18
    .sgpr_spill_count: 0
    .symbol:         _Z6kernelI6reduceILN6hipcub20BlockReduceAlgorithmE0EEfLj64ELj2ELj100EEvPKT0_PS4_.kd
    .uniform_work_group_size: 1
    .uses_dynamic_stack: false
    .vgpr_count:     8
    .vgpr_spill_count: 0
    .wavefront_size: 32
    .workgroup_processor_mode: 1
  - .args:
      - .address_space:  global
        .offset:         0
        .size:           8
        .value_kind:     global_buffer
      - .address_space:  global
        .offset:         8
        .size:           8
        .value_kind:     global_buffer
      - .offset:         16
        .size:           4
        .value_kind:     hidden_block_count_x
      - .offset:         20
        .size:           4
        .value_kind:     hidden_block_count_y
      - .offset:         24
        .size:           4
        .value_kind:     hidden_block_count_z
      - .offset:         28
        .size:           2
        .value_kind:     hidden_group_size_x
      - .offset:         30
        .size:           2
        .value_kind:     hidden_group_size_y
      - .offset:         32
        .size:           2
        .value_kind:     hidden_group_size_z
      - .offset:         34
        .size:           2
        .value_kind:     hidden_remainder_x
      - .offset:         36
        .size:           2
        .value_kind:     hidden_remainder_y
      - .offset:         38
        .size:           2
        .value_kind:     hidden_remainder_z
      - .offset:         56
        .size:           8
        .value_kind:     hidden_global_offset_x
      - .offset:         64
        .size:           8
        .value_kind:     hidden_global_offset_y
      - .offset:         72
        .size:           8
        .value_kind:     hidden_global_offset_z
      - .offset:         80
        .size:           2
        .value_kind:     hidden_grid_dims
    .group_segment_fixed_size: 8
    .kernarg_segment_align: 8
    .kernarg_segment_size: 272
    .language:       OpenCL C
    .language_version:
      - 2
      - 0
    .max_flat_workgroup_size: 64
    .name:           _Z6kernelI6reduceILN6hipcub20BlockReduceAlgorithmE0EEfLj64ELj3ELj100EEvPKT0_PS4_
    .private_segment_fixed_size: 0
    .sgpr_count:     18
    .sgpr_spill_count: 0
    .symbol:         _Z6kernelI6reduceILN6hipcub20BlockReduceAlgorithmE0EEfLj64ELj3ELj100EEvPKT0_PS4_.kd
    .uniform_work_group_size: 1
    .uses_dynamic_stack: false
    .vgpr_count:     9
    .vgpr_spill_count: 0
    .wavefront_size: 32
    .workgroup_processor_mode: 1
  - .args:
      - .address_space:  global
        .offset:         0
        .size:           8
        .value_kind:     global_buffer
      - .address_space:  global
        .offset:         8
        .size:           8
        .value_kind:     global_buffer
      - .offset:         16
        .size:           4
        .value_kind:     hidden_block_count_x
      - .offset:         20
        .size:           4
        .value_kind:     hidden_block_count_y
      - .offset:         24
        .size:           4
        .value_kind:     hidden_block_count_z
      - .offset:         28
        .size:           2
        .value_kind:     hidden_group_size_x
      - .offset:         30
        .size:           2
        .value_kind:     hidden_group_size_y
      - .offset:         32
        .size:           2
        .value_kind:     hidden_group_size_z
      - .offset:         34
        .size:           2
        .value_kind:     hidden_remainder_x
      - .offset:         36
        .size:           2
        .value_kind:     hidden_remainder_y
      - .offset:         38
        .size:           2
        .value_kind:     hidden_remainder_z
      - .offset:         56
        .size:           8
        .value_kind:     hidden_global_offset_x
      - .offset:         64
        .size:           8
        .value_kind:     hidden_global_offset_y
      - .offset:         72
        .size:           8
        .value_kind:     hidden_global_offset_z
      - .offset:         80
        .size:           2
        .value_kind:     hidden_grid_dims
    .group_segment_fixed_size: 8
    .kernarg_segment_align: 8
    .kernarg_segment_size: 272
    .language:       OpenCL C
    .language_version:
      - 2
      - 0
    .max_flat_workgroup_size: 64
    .name:           _Z6kernelI6reduceILN6hipcub20BlockReduceAlgorithmE0EEfLj64ELj4ELj100EEvPKT0_PS4_
    .private_segment_fixed_size: 0
    .sgpr_count:     18
    .sgpr_spill_count: 0
    .symbol:         _Z6kernelI6reduceILN6hipcub20BlockReduceAlgorithmE0EEfLj64ELj4ELj100EEvPKT0_PS4_.kd
    .uniform_work_group_size: 1
    .uses_dynamic_stack: false
    .vgpr_count:     10
    .vgpr_spill_count: 0
    .wavefront_size: 32
    .workgroup_processor_mode: 1
  - .args:
      - .address_space:  global
        .offset:         0
        .size:           8
        .value_kind:     global_buffer
      - .address_space:  global
        .offset:         8
        .size:           8
        .value_kind:     global_buffer
      - .offset:         16
        .size:           4
        .value_kind:     hidden_block_count_x
      - .offset:         20
        .size:           4
        .value_kind:     hidden_block_count_y
      - .offset:         24
        .size:           4
        .value_kind:     hidden_block_count_z
      - .offset:         28
        .size:           2
        .value_kind:     hidden_group_size_x
      - .offset:         30
        .size:           2
        .value_kind:     hidden_group_size_y
      - .offset:         32
        .size:           2
        .value_kind:     hidden_group_size_z
      - .offset:         34
        .size:           2
        .value_kind:     hidden_remainder_x
      - .offset:         36
        .size:           2
        .value_kind:     hidden_remainder_y
      - .offset:         38
        .size:           2
        .value_kind:     hidden_remainder_z
      - .offset:         56
        .size:           8
        .value_kind:     hidden_global_offset_x
      - .offset:         64
        .size:           8
        .value_kind:     hidden_global_offset_y
      - .offset:         72
        .size:           8
        .value_kind:     hidden_global_offset_z
      - .offset:         80
        .size:           2
        .value_kind:     hidden_grid_dims
    .group_segment_fixed_size: 8
    .kernarg_segment_align: 8
    .kernarg_segment_size: 272
    .language:       OpenCL C
    .language_version:
      - 2
      - 0
    .max_flat_workgroup_size: 64
    .name:           _Z6kernelI6reduceILN6hipcub20BlockReduceAlgorithmE0EEfLj64ELj8ELj100EEvPKT0_PS4_
    .private_segment_fixed_size: 0
    .sgpr_count:     18
    .sgpr_spill_count: 0
    .symbol:         _Z6kernelI6reduceILN6hipcub20BlockReduceAlgorithmE0EEfLj64ELj8ELj100EEvPKT0_PS4_.kd
    .uniform_work_group_size: 1
    .uses_dynamic_stack: false
    .vgpr_count:     14
    .vgpr_spill_count: 0
    .wavefront_size: 32
    .workgroup_processor_mode: 1
  - .args:
      - .address_space:  global
        .offset:         0
        .size:           8
        .value_kind:     global_buffer
      - .address_space:  global
        .offset:         8
        .size:           8
        .value_kind:     global_buffer
      - .offset:         16
        .size:           4
        .value_kind:     hidden_block_count_x
      - .offset:         20
        .size:           4
        .value_kind:     hidden_block_count_y
      - .offset:         24
        .size:           4
        .value_kind:     hidden_block_count_z
      - .offset:         28
        .size:           2
        .value_kind:     hidden_group_size_x
      - .offset:         30
        .size:           2
        .value_kind:     hidden_group_size_y
      - .offset:         32
        .size:           2
        .value_kind:     hidden_group_size_z
      - .offset:         34
        .size:           2
        .value_kind:     hidden_remainder_x
      - .offset:         36
        .size:           2
        .value_kind:     hidden_remainder_y
      - .offset:         38
        .size:           2
        .value_kind:     hidden_remainder_z
      - .offset:         56
        .size:           8
        .value_kind:     hidden_global_offset_x
      - .offset:         64
        .size:           8
        .value_kind:     hidden_global_offset_y
      - .offset:         72
        .size:           8
        .value_kind:     hidden_global_offset_z
      - .offset:         80
        .size:           2
        .value_kind:     hidden_grid_dims
    .group_segment_fixed_size: 8
    .kernarg_segment_align: 8
    .kernarg_segment_size: 272
    .language:       OpenCL C
    .language_version:
      - 2
      - 0
    .max_flat_workgroup_size: 64
    .name:           _Z6kernelI6reduceILN6hipcub20BlockReduceAlgorithmE0EEfLj64ELj11ELj100EEvPKT0_PS4_
    .private_segment_fixed_size: 0
    .sgpr_count:     18
    .sgpr_spill_count: 0
    .symbol:         _Z6kernelI6reduceILN6hipcub20BlockReduceAlgorithmE0EEfLj64ELj11ELj100EEvPKT0_PS4_.kd
    .uniform_work_group_size: 1
    .uses_dynamic_stack: false
    .vgpr_count:     27
    .vgpr_spill_count: 0
    .wavefront_size: 32
    .workgroup_processor_mode: 1
  - .args:
      - .address_space:  global
        .offset:         0
        .size:           8
        .value_kind:     global_buffer
      - .address_space:  global
        .offset:         8
        .size:           8
        .value_kind:     global_buffer
      - .offset:         16
        .size:           4
        .value_kind:     hidden_block_count_x
      - .offset:         20
        .size:           4
        .value_kind:     hidden_block_count_y
      - .offset:         24
        .size:           4
        .value_kind:     hidden_block_count_z
      - .offset:         28
        .size:           2
        .value_kind:     hidden_group_size_x
      - .offset:         30
        .size:           2
        .value_kind:     hidden_group_size_y
      - .offset:         32
        .size:           2
        .value_kind:     hidden_group_size_z
      - .offset:         34
        .size:           2
        .value_kind:     hidden_remainder_x
      - .offset:         36
        .size:           2
        .value_kind:     hidden_remainder_y
      - .offset:         38
        .size:           2
        .value_kind:     hidden_remainder_z
      - .offset:         56
        .size:           8
        .value_kind:     hidden_global_offset_x
      - .offset:         64
        .size:           8
        .value_kind:     hidden_global_offset_y
      - .offset:         72
        .size:           8
        .value_kind:     hidden_global_offset_z
      - .offset:         80
        .size:           2
        .value_kind:     hidden_grid_dims
    .group_segment_fixed_size: 8
    .kernarg_segment_align: 8
    .kernarg_segment_size: 272
    .language:       OpenCL C
    .language_version:
      - 2
      - 0
    .max_flat_workgroup_size: 64
    .name:           _Z6kernelI6reduceILN6hipcub20BlockReduceAlgorithmE0EEfLj64ELj16ELj100EEvPKT0_PS4_
    .private_segment_fixed_size: 0
    .sgpr_count:     18
    .sgpr_spill_count: 0
    .symbol:         _Z6kernelI6reduceILN6hipcub20BlockReduceAlgorithmE0EEfLj64ELj16ELj100EEvPKT0_PS4_.kd
    .uniform_work_group_size: 1
    .uses_dynamic_stack: false
    .vgpr_count:     22
    .vgpr_spill_count: 0
    .wavefront_size: 32
    .workgroup_processor_mode: 1
  - .args:
      - .address_space:  global
        .offset:         0
        .size:           8
        .value_kind:     global_buffer
      - .address_space:  global
        .offset:         8
        .size:           8
        .value_kind:     global_buffer
      - .offset:         16
        .size:           4
        .value_kind:     hidden_block_count_x
      - .offset:         20
        .size:           4
        .value_kind:     hidden_block_count_y
      - .offset:         24
        .size:           4
        .value_kind:     hidden_block_count_z
      - .offset:         28
        .size:           2
        .value_kind:     hidden_group_size_x
      - .offset:         30
        .size:           2
        .value_kind:     hidden_group_size_y
      - .offset:         32
        .size:           2
        .value_kind:     hidden_group_size_z
      - .offset:         34
        .size:           2
        .value_kind:     hidden_remainder_x
      - .offset:         36
        .size:           2
        .value_kind:     hidden_remainder_y
      - .offset:         38
        .size:           2
        .value_kind:     hidden_remainder_z
      - .offset:         56
        .size:           8
        .value_kind:     hidden_global_offset_x
      - .offset:         64
        .size:           8
        .value_kind:     hidden_global_offset_y
      - .offset:         72
        .size:           8
        .value_kind:     hidden_global_offset_z
      - .offset:         80
        .size:           2
        .value_kind:     hidden_grid_dims
    .group_segment_fixed_size: 16
    .kernarg_segment_align: 8
    .kernarg_segment_size: 272
    .language:       OpenCL C
    .language_version:
      - 2
      - 0
    .max_flat_workgroup_size: 64
    .name:           _Z6kernelI6reduceILN6hipcub20BlockReduceAlgorithmE0EEdLj64ELj1ELj100EEvPKT0_PS4_
    .private_segment_fixed_size: 0
    .sgpr_count:     18
    .sgpr_spill_count: 0
    .symbol:         _Z6kernelI6reduceILN6hipcub20BlockReduceAlgorithmE0EEdLj64ELj1ELj100EEvPKT0_PS4_.kd
    .uniform_work_group_size: 1
    .uses_dynamic_stack: false
    .vgpr_count:     9
    .vgpr_spill_count: 0
    .wavefront_size: 32
    .workgroup_processor_mode: 1
  - .args:
      - .address_space:  global
        .offset:         0
        .size:           8
        .value_kind:     global_buffer
      - .address_space:  global
        .offset:         8
        .size:           8
        .value_kind:     global_buffer
      - .offset:         16
        .size:           4
        .value_kind:     hidden_block_count_x
      - .offset:         20
        .size:           4
        .value_kind:     hidden_block_count_y
      - .offset:         24
        .size:           4
        .value_kind:     hidden_block_count_z
      - .offset:         28
        .size:           2
        .value_kind:     hidden_group_size_x
      - .offset:         30
        .size:           2
        .value_kind:     hidden_group_size_y
      - .offset:         32
        .size:           2
        .value_kind:     hidden_group_size_z
      - .offset:         34
        .size:           2
        .value_kind:     hidden_remainder_x
      - .offset:         36
        .size:           2
        .value_kind:     hidden_remainder_y
      - .offset:         38
        .size:           2
        .value_kind:     hidden_remainder_z
      - .offset:         56
        .size:           8
        .value_kind:     hidden_global_offset_x
      - .offset:         64
        .size:           8
        .value_kind:     hidden_global_offset_y
      - .offset:         72
        .size:           8
        .value_kind:     hidden_global_offset_z
      - .offset:         80
        .size:           2
        .value_kind:     hidden_grid_dims
    .group_segment_fixed_size: 16
    .kernarg_segment_align: 8
    .kernarg_segment_size: 272
    .language:       OpenCL C
    .language_version:
      - 2
      - 0
    .max_flat_workgroup_size: 64
    .name:           _Z6kernelI6reduceILN6hipcub20BlockReduceAlgorithmE0EEdLj64ELj2ELj100EEvPKT0_PS4_
    .private_segment_fixed_size: 0
    .sgpr_count:     18
    .sgpr_spill_count: 0
    .symbol:         _Z6kernelI6reduceILN6hipcub20BlockReduceAlgorithmE0EEdLj64ELj2ELj100EEvPKT0_PS4_.kd
    .uniform_work_group_size: 1
    .uses_dynamic_stack: false
    .vgpr_count:     11
    .vgpr_spill_count: 0
    .wavefront_size: 32
    .workgroup_processor_mode: 1
  - .args:
      - .address_space:  global
        .offset:         0
        .size:           8
        .value_kind:     global_buffer
      - .address_space:  global
        .offset:         8
        .size:           8
        .value_kind:     global_buffer
      - .offset:         16
        .size:           4
        .value_kind:     hidden_block_count_x
      - .offset:         20
        .size:           4
        .value_kind:     hidden_block_count_y
      - .offset:         24
        .size:           4
        .value_kind:     hidden_block_count_z
      - .offset:         28
        .size:           2
        .value_kind:     hidden_group_size_x
      - .offset:         30
        .size:           2
        .value_kind:     hidden_group_size_y
      - .offset:         32
        .size:           2
        .value_kind:     hidden_group_size_z
      - .offset:         34
        .size:           2
        .value_kind:     hidden_remainder_x
      - .offset:         36
        .size:           2
        .value_kind:     hidden_remainder_y
      - .offset:         38
        .size:           2
        .value_kind:     hidden_remainder_z
      - .offset:         56
        .size:           8
        .value_kind:     hidden_global_offset_x
      - .offset:         64
        .size:           8
        .value_kind:     hidden_global_offset_y
      - .offset:         72
        .size:           8
        .value_kind:     hidden_global_offset_z
      - .offset:         80
        .size:           2
        .value_kind:     hidden_grid_dims
    .group_segment_fixed_size: 16
    .kernarg_segment_align: 8
    .kernarg_segment_size: 272
    .language:       OpenCL C
    .language_version:
      - 2
      - 0
    .max_flat_workgroup_size: 64
    .name:           _Z6kernelI6reduceILN6hipcub20BlockReduceAlgorithmE0EEdLj64ELj3ELj100EEvPKT0_PS4_
    .private_segment_fixed_size: 0
    .sgpr_count:     18
    .sgpr_spill_count: 0
    .symbol:         _Z6kernelI6reduceILN6hipcub20BlockReduceAlgorithmE0EEdLj64ELj3ELj100EEvPKT0_PS4_.kd
    .uniform_work_group_size: 1
    .uses_dynamic_stack: false
    .vgpr_count:     13
    .vgpr_spill_count: 0
    .wavefront_size: 32
    .workgroup_processor_mode: 1
  - .args:
      - .address_space:  global
        .offset:         0
        .size:           8
        .value_kind:     global_buffer
      - .address_space:  global
        .offset:         8
        .size:           8
        .value_kind:     global_buffer
      - .offset:         16
        .size:           4
        .value_kind:     hidden_block_count_x
      - .offset:         20
        .size:           4
        .value_kind:     hidden_block_count_y
      - .offset:         24
        .size:           4
        .value_kind:     hidden_block_count_z
      - .offset:         28
        .size:           2
        .value_kind:     hidden_group_size_x
      - .offset:         30
        .size:           2
        .value_kind:     hidden_group_size_y
      - .offset:         32
        .size:           2
        .value_kind:     hidden_group_size_z
      - .offset:         34
        .size:           2
        .value_kind:     hidden_remainder_x
      - .offset:         36
        .size:           2
        .value_kind:     hidden_remainder_y
      - .offset:         38
        .size:           2
        .value_kind:     hidden_remainder_z
      - .offset:         56
        .size:           8
        .value_kind:     hidden_global_offset_x
      - .offset:         64
        .size:           8
        .value_kind:     hidden_global_offset_y
      - .offset:         72
        .size:           8
        .value_kind:     hidden_global_offset_z
      - .offset:         80
        .size:           2
        .value_kind:     hidden_grid_dims
    .group_segment_fixed_size: 16
    .kernarg_segment_align: 8
    .kernarg_segment_size: 272
    .language:       OpenCL C
    .language_version:
      - 2
      - 0
    .max_flat_workgroup_size: 64
    .name:           _Z6kernelI6reduceILN6hipcub20BlockReduceAlgorithmE0EEdLj64ELj4ELj100EEvPKT0_PS4_
    .private_segment_fixed_size: 0
    .sgpr_count:     18
    .sgpr_spill_count: 0
    .symbol:         _Z6kernelI6reduceILN6hipcub20BlockReduceAlgorithmE0EEdLj64ELj4ELj100EEvPKT0_PS4_.kd
    .uniform_work_group_size: 1
    .uses_dynamic_stack: false
    .vgpr_count:     15
    .vgpr_spill_count: 0
    .wavefront_size: 32
    .workgroup_processor_mode: 1
  - .args:
      - .address_space:  global
        .offset:         0
        .size:           8
        .value_kind:     global_buffer
      - .address_space:  global
        .offset:         8
        .size:           8
        .value_kind:     global_buffer
      - .offset:         16
        .size:           4
        .value_kind:     hidden_block_count_x
      - .offset:         20
        .size:           4
        .value_kind:     hidden_block_count_y
      - .offset:         24
        .size:           4
        .value_kind:     hidden_block_count_z
      - .offset:         28
        .size:           2
        .value_kind:     hidden_group_size_x
      - .offset:         30
        .size:           2
        .value_kind:     hidden_group_size_y
      - .offset:         32
        .size:           2
        .value_kind:     hidden_group_size_z
      - .offset:         34
        .size:           2
        .value_kind:     hidden_remainder_x
      - .offset:         36
        .size:           2
        .value_kind:     hidden_remainder_y
      - .offset:         38
        .size:           2
        .value_kind:     hidden_remainder_z
      - .offset:         56
        .size:           8
        .value_kind:     hidden_global_offset_x
      - .offset:         64
        .size:           8
        .value_kind:     hidden_global_offset_y
      - .offset:         72
        .size:           8
        .value_kind:     hidden_global_offset_z
      - .offset:         80
        .size:           2
        .value_kind:     hidden_grid_dims
    .group_segment_fixed_size: 16
    .kernarg_segment_align: 8
    .kernarg_segment_size: 272
    .language:       OpenCL C
    .language_version:
      - 2
      - 0
    .max_flat_workgroup_size: 64
    .name:           _Z6kernelI6reduceILN6hipcub20BlockReduceAlgorithmE0EEdLj64ELj8ELj100EEvPKT0_PS4_
    .private_segment_fixed_size: 0
    .sgpr_count:     18
    .sgpr_spill_count: 0
    .symbol:         _Z6kernelI6reduceILN6hipcub20BlockReduceAlgorithmE0EEdLj64ELj8ELj100EEvPKT0_PS4_.kd
    .uniform_work_group_size: 1
    .uses_dynamic_stack: false
    .vgpr_count:     23
    .vgpr_spill_count: 0
    .wavefront_size: 32
    .workgroup_processor_mode: 1
  - .args:
      - .address_space:  global
        .offset:         0
        .size:           8
        .value_kind:     global_buffer
      - .address_space:  global
        .offset:         8
        .size:           8
        .value_kind:     global_buffer
      - .offset:         16
        .size:           4
        .value_kind:     hidden_block_count_x
      - .offset:         20
        .size:           4
        .value_kind:     hidden_block_count_y
      - .offset:         24
        .size:           4
        .value_kind:     hidden_block_count_z
      - .offset:         28
        .size:           2
        .value_kind:     hidden_group_size_x
      - .offset:         30
        .size:           2
        .value_kind:     hidden_group_size_y
      - .offset:         32
        .size:           2
        .value_kind:     hidden_group_size_z
      - .offset:         34
        .size:           2
        .value_kind:     hidden_remainder_x
      - .offset:         36
        .size:           2
        .value_kind:     hidden_remainder_y
      - .offset:         38
        .size:           2
        .value_kind:     hidden_remainder_z
      - .offset:         56
        .size:           8
        .value_kind:     hidden_global_offset_x
      - .offset:         64
        .size:           8
        .value_kind:     hidden_global_offset_y
      - .offset:         72
        .size:           8
        .value_kind:     hidden_global_offset_z
      - .offset:         80
        .size:           2
        .value_kind:     hidden_grid_dims
    .group_segment_fixed_size: 16
    .kernarg_segment_align: 8
    .kernarg_segment_size: 272
    .language:       OpenCL C
    .language_version:
      - 2
      - 0
    .max_flat_workgroup_size: 64
    .name:           _Z6kernelI6reduceILN6hipcub20BlockReduceAlgorithmE0EEdLj64ELj11ELj100EEvPKT0_PS4_
    .private_segment_fixed_size: 0
    .sgpr_count:     18
    .sgpr_spill_count: 0
    .symbol:         _Z6kernelI6reduceILN6hipcub20BlockReduceAlgorithmE0EEdLj64ELj11ELj100EEvPKT0_PS4_.kd
    .uniform_work_group_size: 1
    .uses_dynamic_stack: false
    .vgpr_count:     29
    .vgpr_spill_count: 0
    .wavefront_size: 32
    .workgroup_processor_mode: 1
  - .args:
      - .address_space:  global
        .offset:         0
        .size:           8
        .value_kind:     global_buffer
      - .address_space:  global
        .offset:         8
        .size:           8
        .value_kind:     global_buffer
      - .offset:         16
        .size:           4
        .value_kind:     hidden_block_count_x
      - .offset:         20
        .size:           4
        .value_kind:     hidden_block_count_y
      - .offset:         24
        .size:           4
        .value_kind:     hidden_block_count_z
      - .offset:         28
        .size:           2
        .value_kind:     hidden_group_size_x
      - .offset:         30
        .size:           2
        .value_kind:     hidden_group_size_y
      - .offset:         32
        .size:           2
        .value_kind:     hidden_group_size_z
      - .offset:         34
        .size:           2
        .value_kind:     hidden_remainder_x
      - .offset:         36
        .size:           2
        .value_kind:     hidden_remainder_y
      - .offset:         38
        .size:           2
        .value_kind:     hidden_remainder_z
      - .offset:         56
        .size:           8
        .value_kind:     hidden_global_offset_x
      - .offset:         64
        .size:           8
        .value_kind:     hidden_global_offset_y
      - .offset:         72
        .size:           8
        .value_kind:     hidden_global_offset_z
      - .offset:         80
        .size:           2
        .value_kind:     hidden_grid_dims
    .group_segment_fixed_size: 16
    .kernarg_segment_align: 8
    .kernarg_segment_size: 272
    .language:       OpenCL C
    .language_version:
      - 2
      - 0
    .max_flat_workgroup_size: 64
    .name:           _Z6kernelI6reduceILN6hipcub20BlockReduceAlgorithmE0EEdLj64ELj16ELj100EEvPKT0_PS4_
    .private_segment_fixed_size: 0
    .sgpr_count:     18
    .sgpr_spill_count: 0
    .symbol:         _Z6kernelI6reduceILN6hipcub20BlockReduceAlgorithmE0EEdLj64ELj16ELj100EEvPKT0_PS4_.kd
    .uniform_work_group_size: 1
    .uses_dynamic_stack: false
    .vgpr_count:     39
    .vgpr_spill_count: 0
    .wavefront_size: 32
    .workgroup_processor_mode: 1
  - .args:
      - .address_space:  global
        .offset:         0
        .size:           8
        .value_kind:     global_buffer
      - .address_space:  global
        .offset:         8
        .size:           8
        .value_kind:     global_buffer
      - .offset:         16
        .size:           4
        .value_kind:     hidden_block_count_x
      - .offset:         20
        .size:           4
        .value_kind:     hidden_block_count_y
      - .offset:         24
        .size:           4
        .value_kind:     hidden_block_count_z
      - .offset:         28
        .size:           2
        .value_kind:     hidden_group_size_x
      - .offset:         30
        .size:           2
        .value_kind:     hidden_group_size_y
      - .offset:         32
        .size:           2
        .value_kind:     hidden_group_size_z
      - .offset:         34
        .size:           2
        .value_kind:     hidden_remainder_x
      - .offset:         36
        .size:           2
        .value_kind:     hidden_remainder_y
      - .offset:         38
        .size:           2
        .value_kind:     hidden_remainder_z
      - .offset:         56
        .size:           8
        .value_kind:     hidden_global_offset_x
      - .offset:         64
        .size:           8
        .value_kind:     hidden_global_offset_y
      - .offset:         72
        .size:           8
        .value_kind:     hidden_global_offset_z
      - .offset:         80
        .size:           2
        .value_kind:     hidden_grid_dims
    .group_segment_fixed_size: 2
    .kernarg_segment_align: 8
    .kernarg_segment_size: 272
    .language:       OpenCL C
    .language_version:
      - 2
      - 0
    .max_flat_workgroup_size: 64
    .name:           _Z6kernelI6reduceILN6hipcub20BlockReduceAlgorithmE0EEaLj64ELj1ELj100EEvPKT0_PS4_
    .private_segment_fixed_size: 0
    .sgpr_count:     18
    .sgpr_spill_count: 0
    .symbol:         _Z6kernelI6reduceILN6hipcub20BlockReduceAlgorithmE0EEaLj64ELj1ELj100EEvPKT0_PS4_.kd
    .uniform_work_group_size: 1
    .uses_dynamic_stack: false
    .vgpr_count:     7
    .vgpr_spill_count: 0
    .wavefront_size: 32
    .workgroup_processor_mode: 1
  - .args:
      - .address_space:  global
        .offset:         0
        .size:           8
        .value_kind:     global_buffer
      - .address_space:  global
        .offset:         8
        .size:           8
        .value_kind:     global_buffer
      - .offset:         16
        .size:           4
        .value_kind:     hidden_block_count_x
      - .offset:         20
        .size:           4
        .value_kind:     hidden_block_count_y
      - .offset:         24
        .size:           4
        .value_kind:     hidden_block_count_z
      - .offset:         28
        .size:           2
        .value_kind:     hidden_group_size_x
      - .offset:         30
        .size:           2
        .value_kind:     hidden_group_size_y
      - .offset:         32
        .size:           2
        .value_kind:     hidden_group_size_z
      - .offset:         34
        .size:           2
        .value_kind:     hidden_remainder_x
      - .offset:         36
        .size:           2
        .value_kind:     hidden_remainder_y
      - .offset:         38
        .size:           2
        .value_kind:     hidden_remainder_z
      - .offset:         56
        .size:           8
        .value_kind:     hidden_global_offset_x
      - .offset:         64
        .size:           8
        .value_kind:     hidden_global_offset_y
      - .offset:         72
        .size:           8
        .value_kind:     hidden_global_offset_z
      - .offset:         80
        .size:           2
        .value_kind:     hidden_grid_dims
    .group_segment_fixed_size: 2
    .kernarg_segment_align: 8
    .kernarg_segment_size: 272
    .language:       OpenCL C
    .language_version:
      - 2
      - 0
    .max_flat_workgroup_size: 64
    .name:           _Z6kernelI6reduceILN6hipcub20BlockReduceAlgorithmE0EEaLj64ELj2ELj100EEvPKT0_PS4_
    .private_segment_fixed_size: 0
    .sgpr_count:     18
    .sgpr_spill_count: 0
    .symbol:         _Z6kernelI6reduceILN6hipcub20BlockReduceAlgorithmE0EEaLj64ELj2ELj100EEvPKT0_PS4_.kd
    .uniform_work_group_size: 1
    .uses_dynamic_stack: false
    .vgpr_count:     8
    .vgpr_spill_count: 0
    .wavefront_size: 32
    .workgroup_processor_mode: 1
  - .args:
      - .address_space:  global
        .offset:         0
        .size:           8
        .value_kind:     global_buffer
      - .address_space:  global
        .offset:         8
        .size:           8
        .value_kind:     global_buffer
      - .offset:         16
        .size:           4
        .value_kind:     hidden_block_count_x
      - .offset:         20
        .size:           4
        .value_kind:     hidden_block_count_y
      - .offset:         24
        .size:           4
        .value_kind:     hidden_block_count_z
      - .offset:         28
        .size:           2
        .value_kind:     hidden_group_size_x
      - .offset:         30
        .size:           2
        .value_kind:     hidden_group_size_y
      - .offset:         32
        .size:           2
        .value_kind:     hidden_group_size_z
      - .offset:         34
        .size:           2
        .value_kind:     hidden_remainder_x
      - .offset:         36
        .size:           2
        .value_kind:     hidden_remainder_y
      - .offset:         38
        .size:           2
        .value_kind:     hidden_remainder_z
      - .offset:         56
        .size:           8
        .value_kind:     hidden_global_offset_x
      - .offset:         64
        .size:           8
        .value_kind:     hidden_global_offset_y
      - .offset:         72
        .size:           8
        .value_kind:     hidden_global_offset_z
      - .offset:         80
        .size:           2
        .value_kind:     hidden_grid_dims
    .group_segment_fixed_size: 2
    .kernarg_segment_align: 8
    .kernarg_segment_size: 272
    .language:       OpenCL C
    .language_version:
      - 2
      - 0
    .max_flat_workgroup_size: 64
    .name:           _Z6kernelI6reduceILN6hipcub20BlockReduceAlgorithmE0EEaLj64ELj3ELj100EEvPKT0_PS4_
    .private_segment_fixed_size: 0
    .sgpr_count:     18
    .sgpr_spill_count: 0
    .symbol:         _Z6kernelI6reduceILN6hipcub20BlockReduceAlgorithmE0EEaLj64ELj3ELj100EEvPKT0_PS4_.kd
    .uniform_work_group_size: 1
    .uses_dynamic_stack: false
    .vgpr_count:     9
    .vgpr_spill_count: 0
    .wavefront_size: 32
    .workgroup_processor_mode: 1
  - .args:
      - .address_space:  global
        .offset:         0
        .size:           8
        .value_kind:     global_buffer
      - .address_space:  global
        .offset:         8
        .size:           8
        .value_kind:     global_buffer
      - .offset:         16
        .size:           4
        .value_kind:     hidden_block_count_x
      - .offset:         20
        .size:           4
        .value_kind:     hidden_block_count_y
      - .offset:         24
        .size:           4
        .value_kind:     hidden_block_count_z
      - .offset:         28
        .size:           2
        .value_kind:     hidden_group_size_x
      - .offset:         30
        .size:           2
        .value_kind:     hidden_group_size_y
      - .offset:         32
        .size:           2
        .value_kind:     hidden_group_size_z
      - .offset:         34
        .size:           2
        .value_kind:     hidden_remainder_x
      - .offset:         36
        .size:           2
        .value_kind:     hidden_remainder_y
      - .offset:         38
        .size:           2
        .value_kind:     hidden_remainder_z
      - .offset:         56
        .size:           8
        .value_kind:     hidden_global_offset_x
      - .offset:         64
        .size:           8
        .value_kind:     hidden_global_offset_y
      - .offset:         72
        .size:           8
        .value_kind:     hidden_global_offset_z
      - .offset:         80
        .size:           2
        .value_kind:     hidden_grid_dims
    .group_segment_fixed_size: 2
    .kernarg_segment_align: 8
    .kernarg_segment_size: 272
    .language:       OpenCL C
    .language_version:
      - 2
      - 0
    .max_flat_workgroup_size: 64
    .name:           _Z6kernelI6reduceILN6hipcub20BlockReduceAlgorithmE0EEaLj64ELj4ELj100EEvPKT0_PS4_
    .private_segment_fixed_size: 0
    .sgpr_count:     18
    .sgpr_spill_count: 0
    .symbol:         _Z6kernelI6reduceILN6hipcub20BlockReduceAlgorithmE0EEaLj64ELj4ELj100EEvPKT0_PS4_.kd
    .uniform_work_group_size: 1
    .uses_dynamic_stack: false
    .vgpr_count:     8
    .vgpr_spill_count: 0
    .wavefront_size: 32
    .workgroup_processor_mode: 1
  - .args:
      - .address_space:  global
        .offset:         0
        .size:           8
        .value_kind:     global_buffer
      - .address_space:  global
        .offset:         8
        .size:           8
        .value_kind:     global_buffer
      - .offset:         16
        .size:           4
        .value_kind:     hidden_block_count_x
      - .offset:         20
        .size:           4
        .value_kind:     hidden_block_count_y
      - .offset:         24
        .size:           4
        .value_kind:     hidden_block_count_z
      - .offset:         28
        .size:           2
        .value_kind:     hidden_group_size_x
      - .offset:         30
        .size:           2
        .value_kind:     hidden_group_size_y
      - .offset:         32
        .size:           2
        .value_kind:     hidden_group_size_z
      - .offset:         34
        .size:           2
        .value_kind:     hidden_remainder_x
      - .offset:         36
        .size:           2
        .value_kind:     hidden_remainder_y
      - .offset:         38
        .size:           2
        .value_kind:     hidden_remainder_z
      - .offset:         56
        .size:           8
        .value_kind:     hidden_global_offset_x
      - .offset:         64
        .size:           8
        .value_kind:     hidden_global_offset_y
      - .offset:         72
        .size:           8
        .value_kind:     hidden_global_offset_z
      - .offset:         80
        .size:           2
        .value_kind:     hidden_grid_dims
    .group_segment_fixed_size: 2
    .kernarg_segment_align: 8
    .kernarg_segment_size: 272
    .language:       OpenCL C
    .language_version:
      - 2
      - 0
    .max_flat_workgroup_size: 64
    .name:           _Z6kernelI6reduceILN6hipcub20BlockReduceAlgorithmE0EEaLj64ELj8ELj100EEvPKT0_PS4_
    .private_segment_fixed_size: 0
    .sgpr_count:     18
    .sgpr_spill_count: 0
    .symbol:         _Z6kernelI6reduceILN6hipcub20BlockReduceAlgorithmE0EEaLj64ELj8ELj100EEvPKT0_PS4_.kd
    .uniform_work_group_size: 1
    .uses_dynamic_stack: false
    .vgpr_count:     10
    .vgpr_spill_count: 0
    .wavefront_size: 32
    .workgroup_processor_mode: 1
  - .args:
      - .address_space:  global
        .offset:         0
        .size:           8
        .value_kind:     global_buffer
      - .address_space:  global
        .offset:         8
        .size:           8
        .value_kind:     global_buffer
      - .offset:         16
        .size:           4
        .value_kind:     hidden_block_count_x
      - .offset:         20
        .size:           4
        .value_kind:     hidden_block_count_y
      - .offset:         24
        .size:           4
        .value_kind:     hidden_block_count_z
      - .offset:         28
        .size:           2
        .value_kind:     hidden_group_size_x
      - .offset:         30
        .size:           2
        .value_kind:     hidden_group_size_y
      - .offset:         32
        .size:           2
        .value_kind:     hidden_group_size_z
      - .offset:         34
        .size:           2
        .value_kind:     hidden_remainder_x
      - .offset:         36
        .size:           2
        .value_kind:     hidden_remainder_y
      - .offset:         38
        .size:           2
        .value_kind:     hidden_remainder_z
      - .offset:         56
        .size:           8
        .value_kind:     hidden_global_offset_x
      - .offset:         64
        .size:           8
        .value_kind:     hidden_global_offset_y
      - .offset:         72
        .size:           8
        .value_kind:     hidden_global_offset_z
      - .offset:         80
        .size:           2
        .value_kind:     hidden_grid_dims
    .group_segment_fixed_size: 2
    .kernarg_segment_align: 8
    .kernarg_segment_size: 272
    .language:       OpenCL C
    .language_version:
      - 2
      - 0
    .max_flat_workgroup_size: 64
    .name:           _Z6kernelI6reduceILN6hipcub20BlockReduceAlgorithmE0EEaLj64ELj11ELj100EEvPKT0_PS4_
    .private_segment_fixed_size: 0
    .sgpr_count:     18
    .sgpr_spill_count: 0
    .symbol:         _Z6kernelI6reduceILN6hipcub20BlockReduceAlgorithmE0EEaLj64ELj11ELj100EEvPKT0_PS4_.kd
    .uniform_work_group_size: 1
    .uses_dynamic_stack: false
    .vgpr_count:     14
    .vgpr_spill_count: 0
    .wavefront_size: 32
    .workgroup_processor_mode: 1
  - .args:
      - .address_space:  global
        .offset:         0
        .size:           8
        .value_kind:     global_buffer
      - .address_space:  global
        .offset:         8
        .size:           8
        .value_kind:     global_buffer
      - .offset:         16
        .size:           4
        .value_kind:     hidden_block_count_x
      - .offset:         20
        .size:           4
        .value_kind:     hidden_block_count_y
      - .offset:         24
        .size:           4
        .value_kind:     hidden_block_count_z
      - .offset:         28
        .size:           2
        .value_kind:     hidden_group_size_x
      - .offset:         30
        .size:           2
        .value_kind:     hidden_group_size_y
      - .offset:         32
        .size:           2
        .value_kind:     hidden_group_size_z
      - .offset:         34
        .size:           2
        .value_kind:     hidden_remainder_x
      - .offset:         36
        .size:           2
        .value_kind:     hidden_remainder_y
      - .offset:         38
        .size:           2
        .value_kind:     hidden_remainder_z
      - .offset:         56
        .size:           8
        .value_kind:     hidden_global_offset_x
      - .offset:         64
        .size:           8
        .value_kind:     hidden_global_offset_y
      - .offset:         72
        .size:           8
        .value_kind:     hidden_global_offset_z
      - .offset:         80
        .size:           2
        .value_kind:     hidden_grid_dims
    .group_segment_fixed_size: 2
    .kernarg_segment_align: 8
    .kernarg_segment_size: 272
    .language:       OpenCL C
    .language_version:
      - 2
      - 0
    .max_flat_workgroup_size: 64
    .name:           _Z6kernelI6reduceILN6hipcub20BlockReduceAlgorithmE0EEaLj64ELj16ELj100EEvPKT0_PS4_
    .private_segment_fixed_size: 0
    .sgpr_count:     18
    .sgpr_spill_count: 0
    .symbol:         _Z6kernelI6reduceILN6hipcub20BlockReduceAlgorithmE0EEaLj64ELj16ELj100EEvPKT0_PS4_.kd
    .uniform_work_group_size: 1
    .uses_dynamic_stack: false
    .vgpr_count:     12
    .vgpr_spill_count: 0
    .wavefront_size: 32
    .workgroup_processor_mode: 1
  - .args:
      - .address_space:  global
        .offset:         0
        .size:           8
        .value_kind:     global_buffer
      - .address_space:  global
        .offset:         8
        .size:           8
        .value_kind:     global_buffer
      - .offset:         16
        .size:           4
        .value_kind:     hidden_block_count_x
      - .offset:         20
        .size:           4
        .value_kind:     hidden_block_count_y
      - .offset:         24
        .size:           4
        .value_kind:     hidden_block_count_z
      - .offset:         28
        .size:           2
        .value_kind:     hidden_group_size_x
      - .offset:         30
        .size:           2
        .value_kind:     hidden_group_size_y
      - .offset:         32
        .size:           2
        .value_kind:     hidden_group_size_z
      - .offset:         34
        .size:           2
        .value_kind:     hidden_remainder_x
      - .offset:         36
        .size:           2
        .value_kind:     hidden_remainder_y
      - .offset:         38
        .size:           2
        .value_kind:     hidden_remainder_z
      - .offset:         56
        .size:           8
        .value_kind:     hidden_global_offset_x
      - .offset:         64
        .size:           8
        .value_kind:     hidden_global_offset_y
      - .offset:         72
        .size:           8
        .value_kind:     hidden_global_offset_z
      - .offset:         80
        .size:           2
        .value_kind:     hidden_grid_dims
    .group_segment_fixed_size: 2
    .kernarg_segment_align: 8
    .kernarg_segment_size: 272
    .language:       OpenCL C
    .language_version:
      - 2
      - 0
    .max_flat_workgroup_size: 64
    .name:           _Z6kernelI6reduceILN6hipcub20BlockReduceAlgorithmE0EEhLj64ELj1ELj100EEvPKT0_PS4_
    .private_segment_fixed_size: 0
    .sgpr_count:     18
    .sgpr_spill_count: 0
    .symbol:         _Z6kernelI6reduceILN6hipcub20BlockReduceAlgorithmE0EEhLj64ELj1ELj100EEvPKT0_PS4_.kd
    .uniform_work_group_size: 1
    .uses_dynamic_stack: false
    .vgpr_count:     7
    .vgpr_spill_count: 0
    .wavefront_size: 32
    .workgroup_processor_mode: 1
  - .args:
      - .address_space:  global
        .offset:         0
        .size:           8
        .value_kind:     global_buffer
      - .address_space:  global
        .offset:         8
        .size:           8
        .value_kind:     global_buffer
      - .offset:         16
        .size:           4
        .value_kind:     hidden_block_count_x
      - .offset:         20
        .size:           4
        .value_kind:     hidden_block_count_y
      - .offset:         24
        .size:           4
        .value_kind:     hidden_block_count_z
      - .offset:         28
        .size:           2
        .value_kind:     hidden_group_size_x
      - .offset:         30
        .size:           2
        .value_kind:     hidden_group_size_y
      - .offset:         32
        .size:           2
        .value_kind:     hidden_group_size_z
      - .offset:         34
        .size:           2
        .value_kind:     hidden_remainder_x
      - .offset:         36
        .size:           2
        .value_kind:     hidden_remainder_y
      - .offset:         38
        .size:           2
        .value_kind:     hidden_remainder_z
      - .offset:         56
        .size:           8
        .value_kind:     hidden_global_offset_x
      - .offset:         64
        .size:           8
        .value_kind:     hidden_global_offset_y
      - .offset:         72
        .size:           8
        .value_kind:     hidden_global_offset_z
      - .offset:         80
        .size:           2
        .value_kind:     hidden_grid_dims
    .group_segment_fixed_size: 2
    .kernarg_segment_align: 8
    .kernarg_segment_size: 272
    .language:       OpenCL C
    .language_version:
      - 2
      - 0
    .max_flat_workgroup_size: 64
    .name:           _Z6kernelI6reduceILN6hipcub20BlockReduceAlgorithmE0EEhLj64ELj2ELj100EEvPKT0_PS4_
    .private_segment_fixed_size: 0
    .sgpr_count:     18
    .sgpr_spill_count: 0
    .symbol:         _Z6kernelI6reduceILN6hipcub20BlockReduceAlgorithmE0EEhLj64ELj2ELj100EEvPKT0_PS4_.kd
    .uniform_work_group_size: 1
    .uses_dynamic_stack: false
    .vgpr_count:     8
    .vgpr_spill_count: 0
    .wavefront_size: 32
    .workgroup_processor_mode: 1
  - .args:
      - .address_space:  global
        .offset:         0
        .size:           8
        .value_kind:     global_buffer
      - .address_space:  global
        .offset:         8
        .size:           8
        .value_kind:     global_buffer
      - .offset:         16
        .size:           4
        .value_kind:     hidden_block_count_x
      - .offset:         20
        .size:           4
        .value_kind:     hidden_block_count_y
      - .offset:         24
        .size:           4
        .value_kind:     hidden_block_count_z
      - .offset:         28
        .size:           2
        .value_kind:     hidden_group_size_x
      - .offset:         30
        .size:           2
        .value_kind:     hidden_group_size_y
      - .offset:         32
        .size:           2
        .value_kind:     hidden_group_size_z
      - .offset:         34
        .size:           2
        .value_kind:     hidden_remainder_x
      - .offset:         36
        .size:           2
        .value_kind:     hidden_remainder_y
      - .offset:         38
        .size:           2
        .value_kind:     hidden_remainder_z
      - .offset:         56
        .size:           8
        .value_kind:     hidden_global_offset_x
      - .offset:         64
        .size:           8
        .value_kind:     hidden_global_offset_y
      - .offset:         72
        .size:           8
        .value_kind:     hidden_global_offset_z
      - .offset:         80
        .size:           2
        .value_kind:     hidden_grid_dims
    .group_segment_fixed_size: 2
    .kernarg_segment_align: 8
    .kernarg_segment_size: 272
    .language:       OpenCL C
    .language_version:
      - 2
      - 0
    .max_flat_workgroup_size: 64
    .name:           _Z6kernelI6reduceILN6hipcub20BlockReduceAlgorithmE0EEhLj64ELj3ELj100EEvPKT0_PS4_
    .private_segment_fixed_size: 0
    .sgpr_count:     18
    .sgpr_spill_count: 0
    .symbol:         _Z6kernelI6reduceILN6hipcub20BlockReduceAlgorithmE0EEhLj64ELj3ELj100EEvPKT0_PS4_.kd
    .uniform_work_group_size: 1
    .uses_dynamic_stack: false
    .vgpr_count:     9
    .vgpr_spill_count: 0
    .wavefront_size: 32
    .workgroup_processor_mode: 1
  - .args:
      - .address_space:  global
        .offset:         0
        .size:           8
        .value_kind:     global_buffer
      - .address_space:  global
        .offset:         8
        .size:           8
        .value_kind:     global_buffer
      - .offset:         16
        .size:           4
        .value_kind:     hidden_block_count_x
      - .offset:         20
        .size:           4
        .value_kind:     hidden_block_count_y
      - .offset:         24
        .size:           4
        .value_kind:     hidden_block_count_z
      - .offset:         28
        .size:           2
        .value_kind:     hidden_group_size_x
      - .offset:         30
        .size:           2
        .value_kind:     hidden_group_size_y
      - .offset:         32
        .size:           2
        .value_kind:     hidden_group_size_z
      - .offset:         34
        .size:           2
        .value_kind:     hidden_remainder_x
      - .offset:         36
        .size:           2
        .value_kind:     hidden_remainder_y
      - .offset:         38
        .size:           2
        .value_kind:     hidden_remainder_z
      - .offset:         56
        .size:           8
        .value_kind:     hidden_global_offset_x
      - .offset:         64
        .size:           8
        .value_kind:     hidden_global_offset_y
      - .offset:         72
        .size:           8
        .value_kind:     hidden_global_offset_z
      - .offset:         80
        .size:           2
        .value_kind:     hidden_grid_dims
    .group_segment_fixed_size: 2
    .kernarg_segment_align: 8
    .kernarg_segment_size: 272
    .language:       OpenCL C
    .language_version:
      - 2
      - 0
    .max_flat_workgroup_size: 64
    .name:           _Z6kernelI6reduceILN6hipcub20BlockReduceAlgorithmE0EEhLj64ELj4ELj100EEvPKT0_PS4_
    .private_segment_fixed_size: 0
    .sgpr_count:     18
    .sgpr_spill_count: 0
    .symbol:         _Z6kernelI6reduceILN6hipcub20BlockReduceAlgorithmE0EEhLj64ELj4ELj100EEvPKT0_PS4_.kd
    .uniform_work_group_size: 1
    .uses_dynamic_stack: false
    .vgpr_count:     8
    .vgpr_spill_count: 0
    .wavefront_size: 32
    .workgroup_processor_mode: 1
  - .args:
      - .address_space:  global
        .offset:         0
        .size:           8
        .value_kind:     global_buffer
      - .address_space:  global
        .offset:         8
        .size:           8
        .value_kind:     global_buffer
      - .offset:         16
        .size:           4
        .value_kind:     hidden_block_count_x
      - .offset:         20
        .size:           4
        .value_kind:     hidden_block_count_y
      - .offset:         24
        .size:           4
        .value_kind:     hidden_block_count_z
      - .offset:         28
        .size:           2
        .value_kind:     hidden_group_size_x
      - .offset:         30
        .size:           2
        .value_kind:     hidden_group_size_y
      - .offset:         32
        .size:           2
        .value_kind:     hidden_group_size_z
      - .offset:         34
        .size:           2
        .value_kind:     hidden_remainder_x
      - .offset:         36
        .size:           2
        .value_kind:     hidden_remainder_y
      - .offset:         38
        .size:           2
        .value_kind:     hidden_remainder_z
      - .offset:         56
        .size:           8
        .value_kind:     hidden_global_offset_x
      - .offset:         64
        .size:           8
        .value_kind:     hidden_global_offset_y
      - .offset:         72
        .size:           8
        .value_kind:     hidden_global_offset_z
      - .offset:         80
        .size:           2
        .value_kind:     hidden_grid_dims
    .group_segment_fixed_size: 2
    .kernarg_segment_align: 8
    .kernarg_segment_size: 272
    .language:       OpenCL C
    .language_version:
      - 2
      - 0
    .max_flat_workgroup_size: 64
    .name:           _Z6kernelI6reduceILN6hipcub20BlockReduceAlgorithmE0EEhLj64ELj8ELj100EEvPKT0_PS4_
    .private_segment_fixed_size: 0
    .sgpr_count:     18
    .sgpr_spill_count: 0
    .symbol:         _Z6kernelI6reduceILN6hipcub20BlockReduceAlgorithmE0EEhLj64ELj8ELj100EEvPKT0_PS4_.kd
    .uniform_work_group_size: 1
    .uses_dynamic_stack: false
    .vgpr_count:     10
    .vgpr_spill_count: 0
    .wavefront_size: 32
    .workgroup_processor_mode: 1
  - .args:
      - .address_space:  global
        .offset:         0
        .size:           8
        .value_kind:     global_buffer
      - .address_space:  global
        .offset:         8
        .size:           8
        .value_kind:     global_buffer
      - .offset:         16
        .size:           4
        .value_kind:     hidden_block_count_x
      - .offset:         20
        .size:           4
        .value_kind:     hidden_block_count_y
      - .offset:         24
        .size:           4
        .value_kind:     hidden_block_count_z
      - .offset:         28
        .size:           2
        .value_kind:     hidden_group_size_x
      - .offset:         30
        .size:           2
        .value_kind:     hidden_group_size_y
      - .offset:         32
        .size:           2
        .value_kind:     hidden_group_size_z
      - .offset:         34
        .size:           2
        .value_kind:     hidden_remainder_x
      - .offset:         36
        .size:           2
        .value_kind:     hidden_remainder_y
      - .offset:         38
        .size:           2
        .value_kind:     hidden_remainder_z
      - .offset:         56
        .size:           8
        .value_kind:     hidden_global_offset_x
      - .offset:         64
        .size:           8
        .value_kind:     hidden_global_offset_y
      - .offset:         72
        .size:           8
        .value_kind:     hidden_global_offset_z
      - .offset:         80
        .size:           2
        .value_kind:     hidden_grid_dims
    .group_segment_fixed_size: 2
    .kernarg_segment_align: 8
    .kernarg_segment_size: 272
    .language:       OpenCL C
    .language_version:
      - 2
      - 0
    .max_flat_workgroup_size: 64
    .name:           _Z6kernelI6reduceILN6hipcub20BlockReduceAlgorithmE0EEhLj64ELj11ELj100EEvPKT0_PS4_
    .private_segment_fixed_size: 0
    .sgpr_count:     18
    .sgpr_spill_count: 0
    .symbol:         _Z6kernelI6reduceILN6hipcub20BlockReduceAlgorithmE0EEhLj64ELj11ELj100EEvPKT0_PS4_.kd
    .uniform_work_group_size: 1
    .uses_dynamic_stack: false
    .vgpr_count:     14
    .vgpr_spill_count: 0
    .wavefront_size: 32
    .workgroup_processor_mode: 1
  - .args:
      - .address_space:  global
        .offset:         0
        .size:           8
        .value_kind:     global_buffer
      - .address_space:  global
        .offset:         8
        .size:           8
        .value_kind:     global_buffer
      - .offset:         16
        .size:           4
        .value_kind:     hidden_block_count_x
      - .offset:         20
        .size:           4
        .value_kind:     hidden_block_count_y
      - .offset:         24
        .size:           4
        .value_kind:     hidden_block_count_z
      - .offset:         28
        .size:           2
        .value_kind:     hidden_group_size_x
      - .offset:         30
        .size:           2
        .value_kind:     hidden_group_size_y
      - .offset:         32
        .size:           2
        .value_kind:     hidden_group_size_z
      - .offset:         34
        .size:           2
        .value_kind:     hidden_remainder_x
      - .offset:         36
        .size:           2
        .value_kind:     hidden_remainder_y
      - .offset:         38
        .size:           2
        .value_kind:     hidden_remainder_z
      - .offset:         56
        .size:           8
        .value_kind:     hidden_global_offset_x
      - .offset:         64
        .size:           8
        .value_kind:     hidden_global_offset_y
      - .offset:         72
        .size:           8
        .value_kind:     hidden_global_offset_z
      - .offset:         80
        .size:           2
        .value_kind:     hidden_grid_dims
    .group_segment_fixed_size: 2
    .kernarg_segment_align: 8
    .kernarg_segment_size: 272
    .language:       OpenCL C
    .language_version:
      - 2
      - 0
    .max_flat_workgroup_size: 64
    .name:           _Z6kernelI6reduceILN6hipcub20BlockReduceAlgorithmE0EEhLj64ELj16ELj100EEvPKT0_PS4_
    .private_segment_fixed_size: 0
    .sgpr_count:     18
    .sgpr_spill_count: 0
    .symbol:         _Z6kernelI6reduceILN6hipcub20BlockReduceAlgorithmE0EEhLj64ELj16ELj100EEvPKT0_PS4_.kd
    .uniform_work_group_size: 1
    .uses_dynamic_stack: false
    .vgpr_count:     12
    .vgpr_spill_count: 0
    .wavefront_size: 32
    .workgroup_processor_mode: 1
  - .args:
      - .address_space:  global
        .offset:         0
        .size:           8
        .value_kind:     global_buffer
      - .address_space:  global
        .offset:         8
        .size:           8
        .value_kind:     global_buffer
      - .offset:         16
        .size:           4
        .value_kind:     hidden_block_count_x
      - .offset:         20
        .size:           4
        .value_kind:     hidden_block_count_y
      - .offset:         24
        .size:           4
        .value_kind:     hidden_block_count_z
      - .offset:         28
        .size:           2
        .value_kind:     hidden_group_size_x
      - .offset:         30
        .size:           2
        .value_kind:     hidden_group_size_y
      - .offset:         32
        .size:           2
        .value_kind:     hidden_group_size_z
      - .offset:         34
        .size:           2
        .value_kind:     hidden_remainder_x
      - .offset:         36
        .size:           2
        .value_kind:     hidden_remainder_y
      - .offset:         38
        .size:           2
        .value_kind:     hidden_remainder_z
      - .offset:         56
        .size:           8
        .value_kind:     hidden_global_offset_x
      - .offset:         64
        .size:           8
        .value_kind:     hidden_global_offset_y
      - .offset:         72
        .size:           8
        .value_kind:     hidden_global_offset_z
      - .offset:         80
        .size:           2
        .value_kind:     hidden_grid_dims
    .group_segment_fixed_size: 32
    .kernarg_segment_align: 8
    .kernarg_segment_size: 272
    .language:       OpenCL C
    .language_version:
      - 2
      - 0
    .max_flat_workgroup_size: 256
    .name:           _Z6kernelI6reduceILN6hipcub20BlockReduceAlgorithmE0EEiLj256ELj1ELj100EEvPKT0_PS4_
    .private_segment_fixed_size: 0
    .sgpr_count:     18
    .sgpr_spill_count: 0
    .symbol:         _Z6kernelI6reduceILN6hipcub20BlockReduceAlgorithmE0EEiLj256ELj1ELj100EEvPKT0_PS4_.kd
    .uniform_work_group_size: 1
    .uses_dynamic_stack: false
    .vgpr_count:     11
    .vgpr_spill_count: 0
    .wavefront_size: 32
    .workgroup_processor_mode: 1
  - .args:
      - .address_space:  global
        .offset:         0
        .size:           8
        .value_kind:     global_buffer
      - .address_space:  global
        .offset:         8
        .size:           8
        .value_kind:     global_buffer
      - .offset:         16
        .size:           4
        .value_kind:     hidden_block_count_x
      - .offset:         20
        .size:           4
        .value_kind:     hidden_block_count_y
      - .offset:         24
        .size:           4
        .value_kind:     hidden_block_count_z
      - .offset:         28
        .size:           2
        .value_kind:     hidden_group_size_x
      - .offset:         30
        .size:           2
        .value_kind:     hidden_group_size_y
      - .offset:         32
        .size:           2
        .value_kind:     hidden_group_size_z
      - .offset:         34
        .size:           2
        .value_kind:     hidden_remainder_x
      - .offset:         36
        .size:           2
        .value_kind:     hidden_remainder_y
      - .offset:         38
        .size:           2
        .value_kind:     hidden_remainder_z
      - .offset:         56
        .size:           8
        .value_kind:     hidden_global_offset_x
      - .offset:         64
        .size:           8
        .value_kind:     hidden_global_offset_y
      - .offset:         72
        .size:           8
        .value_kind:     hidden_global_offset_z
      - .offset:         80
        .size:           2
        .value_kind:     hidden_grid_dims
    .group_segment_fixed_size: 32
    .kernarg_segment_align: 8
    .kernarg_segment_size: 272
    .language:       OpenCL C
    .language_version:
      - 2
      - 0
    .max_flat_workgroup_size: 256
    .name:           _Z6kernelI6reduceILN6hipcub20BlockReduceAlgorithmE0EEiLj256ELj2ELj100EEvPKT0_PS4_
    .private_segment_fixed_size: 0
    .sgpr_count:     18
    .sgpr_spill_count: 0
    .symbol:         _Z6kernelI6reduceILN6hipcub20BlockReduceAlgorithmE0EEiLj256ELj2ELj100EEvPKT0_PS4_.kd
    .uniform_work_group_size: 1
    .uses_dynamic_stack: false
    .vgpr_count:     12
    .vgpr_spill_count: 0
    .wavefront_size: 32
    .workgroup_processor_mode: 1
  - .args:
      - .address_space:  global
        .offset:         0
        .size:           8
        .value_kind:     global_buffer
      - .address_space:  global
        .offset:         8
        .size:           8
        .value_kind:     global_buffer
      - .offset:         16
        .size:           4
        .value_kind:     hidden_block_count_x
      - .offset:         20
        .size:           4
        .value_kind:     hidden_block_count_y
      - .offset:         24
        .size:           4
        .value_kind:     hidden_block_count_z
      - .offset:         28
        .size:           2
        .value_kind:     hidden_group_size_x
      - .offset:         30
        .size:           2
        .value_kind:     hidden_group_size_y
      - .offset:         32
        .size:           2
        .value_kind:     hidden_group_size_z
      - .offset:         34
        .size:           2
        .value_kind:     hidden_remainder_x
      - .offset:         36
        .size:           2
        .value_kind:     hidden_remainder_y
      - .offset:         38
        .size:           2
        .value_kind:     hidden_remainder_z
      - .offset:         56
        .size:           8
        .value_kind:     hidden_global_offset_x
      - .offset:         64
        .size:           8
        .value_kind:     hidden_global_offset_y
      - .offset:         72
        .size:           8
        .value_kind:     hidden_global_offset_z
      - .offset:         80
        .size:           2
        .value_kind:     hidden_grid_dims
    .group_segment_fixed_size: 32
    .kernarg_segment_align: 8
    .kernarg_segment_size: 272
    .language:       OpenCL C
    .language_version:
      - 2
      - 0
    .max_flat_workgroup_size: 256
    .name:           _Z6kernelI6reduceILN6hipcub20BlockReduceAlgorithmE0EEiLj256ELj3ELj100EEvPKT0_PS4_
    .private_segment_fixed_size: 0
    .sgpr_count:     18
    .sgpr_spill_count: 0
    .symbol:         _Z6kernelI6reduceILN6hipcub20BlockReduceAlgorithmE0EEiLj256ELj3ELj100EEvPKT0_PS4_.kd
    .uniform_work_group_size: 1
    .uses_dynamic_stack: false
    .vgpr_count:     13
    .vgpr_spill_count: 0
    .wavefront_size: 32
    .workgroup_processor_mode: 1
  - .args:
      - .address_space:  global
        .offset:         0
        .size:           8
        .value_kind:     global_buffer
      - .address_space:  global
        .offset:         8
        .size:           8
        .value_kind:     global_buffer
      - .offset:         16
        .size:           4
        .value_kind:     hidden_block_count_x
      - .offset:         20
        .size:           4
        .value_kind:     hidden_block_count_y
      - .offset:         24
        .size:           4
        .value_kind:     hidden_block_count_z
      - .offset:         28
        .size:           2
        .value_kind:     hidden_group_size_x
      - .offset:         30
        .size:           2
        .value_kind:     hidden_group_size_y
      - .offset:         32
        .size:           2
        .value_kind:     hidden_group_size_z
      - .offset:         34
        .size:           2
        .value_kind:     hidden_remainder_x
      - .offset:         36
        .size:           2
        .value_kind:     hidden_remainder_y
      - .offset:         38
        .size:           2
        .value_kind:     hidden_remainder_z
      - .offset:         56
        .size:           8
        .value_kind:     hidden_global_offset_x
      - .offset:         64
        .size:           8
        .value_kind:     hidden_global_offset_y
      - .offset:         72
        .size:           8
        .value_kind:     hidden_global_offset_z
      - .offset:         80
        .size:           2
        .value_kind:     hidden_grid_dims
    .group_segment_fixed_size: 32
    .kernarg_segment_align: 8
    .kernarg_segment_size: 272
    .language:       OpenCL C
    .language_version:
      - 2
      - 0
    .max_flat_workgroup_size: 256
    .name:           _Z6kernelI6reduceILN6hipcub20BlockReduceAlgorithmE0EEiLj256ELj4ELj100EEvPKT0_PS4_
    .private_segment_fixed_size: 0
    .sgpr_count:     18
    .sgpr_spill_count: 0
    .symbol:         _Z6kernelI6reduceILN6hipcub20BlockReduceAlgorithmE0EEiLj256ELj4ELj100EEvPKT0_PS4_.kd
    .uniform_work_group_size: 1
    .uses_dynamic_stack: false
    .vgpr_count:     14
    .vgpr_spill_count: 0
    .wavefront_size: 32
    .workgroup_processor_mode: 1
  - .args:
      - .address_space:  global
        .offset:         0
        .size:           8
        .value_kind:     global_buffer
      - .address_space:  global
        .offset:         8
        .size:           8
        .value_kind:     global_buffer
      - .offset:         16
        .size:           4
        .value_kind:     hidden_block_count_x
      - .offset:         20
        .size:           4
        .value_kind:     hidden_block_count_y
      - .offset:         24
        .size:           4
        .value_kind:     hidden_block_count_z
      - .offset:         28
        .size:           2
        .value_kind:     hidden_group_size_x
      - .offset:         30
        .size:           2
        .value_kind:     hidden_group_size_y
      - .offset:         32
        .size:           2
        .value_kind:     hidden_group_size_z
      - .offset:         34
        .size:           2
        .value_kind:     hidden_remainder_x
      - .offset:         36
        .size:           2
        .value_kind:     hidden_remainder_y
      - .offset:         38
        .size:           2
        .value_kind:     hidden_remainder_z
      - .offset:         56
        .size:           8
        .value_kind:     hidden_global_offset_x
      - .offset:         64
        .size:           8
        .value_kind:     hidden_global_offset_y
      - .offset:         72
        .size:           8
        .value_kind:     hidden_global_offset_z
      - .offset:         80
        .size:           2
        .value_kind:     hidden_grid_dims
    .group_segment_fixed_size: 32
    .kernarg_segment_align: 8
    .kernarg_segment_size: 272
    .language:       OpenCL C
    .language_version:
      - 2
      - 0
    .max_flat_workgroup_size: 256
    .name:           _Z6kernelI6reduceILN6hipcub20BlockReduceAlgorithmE0EEiLj256ELj8ELj100EEvPKT0_PS4_
    .private_segment_fixed_size: 0
    .sgpr_count:     18
    .sgpr_spill_count: 0
    .symbol:         _Z6kernelI6reduceILN6hipcub20BlockReduceAlgorithmE0EEiLj256ELj8ELj100EEvPKT0_PS4_.kd
    .uniform_work_group_size: 1
    .uses_dynamic_stack: false
    .vgpr_count:     18
    .vgpr_spill_count: 0
    .wavefront_size: 32
    .workgroup_processor_mode: 1
  - .args:
      - .address_space:  global
        .offset:         0
        .size:           8
        .value_kind:     global_buffer
      - .address_space:  global
        .offset:         8
        .size:           8
        .value_kind:     global_buffer
      - .offset:         16
        .size:           4
        .value_kind:     hidden_block_count_x
      - .offset:         20
        .size:           4
        .value_kind:     hidden_block_count_y
      - .offset:         24
        .size:           4
        .value_kind:     hidden_block_count_z
      - .offset:         28
        .size:           2
        .value_kind:     hidden_group_size_x
      - .offset:         30
        .size:           2
        .value_kind:     hidden_group_size_y
      - .offset:         32
        .size:           2
        .value_kind:     hidden_group_size_z
      - .offset:         34
        .size:           2
        .value_kind:     hidden_remainder_x
      - .offset:         36
        .size:           2
        .value_kind:     hidden_remainder_y
      - .offset:         38
        .size:           2
        .value_kind:     hidden_remainder_z
      - .offset:         56
        .size:           8
        .value_kind:     hidden_global_offset_x
      - .offset:         64
        .size:           8
        .value_kind:     hidden_global_offset_y
      - .offset:         72
        .size:           8
        .value_kind:     hidden_global_offset_z
      - .offset:         80
        .size:           2
        .value_kind:     hidden_grid_dims
    .group_segment_fixed_size: 32
    .kernarg_segment_align: 8
    .kernarg_segment_size: 272
    .language:       OpenCL C
    .language_version:
      - 2
      - 0
    .max_flat_workgroup_size: 256
    .name:           _Z6kernelI6reduceILN6hipcub20BlockReduceAlgorithmE0EEiLj256ELj11ELj100EEvPKT0_PS4_
    .private_segment_fixed_size: 0
    .sgpr_count:     18
    .sgpr_spill_count: 0
    .symbol:         _Z6kernelI6reduceILN6hipcub20BlockReduceAlgorithmE0EEiLj256ELj11ELj100EEvPKT0_PS4_.kd
    .uniform_work_group_size: 1
    .uses_dynamic_stack: false
    .vgpr_count:     25
    .vgpr_spill_count: 0
    .wavefront_size: 32
    .workgroup_processor_mode: 1
  - .args:
      - .address_space:  global
        .offset:         0
        .size:           8
        .value_kind:     global_buffer
      - .address_space:  global
        .offset:         8
        .size:           8
        .value_kind:     global_buffer
      - .offset:         16
        .size:           4
        .value_kind:     hidden_block_count_x
      - .offset:         20
        .size:           4
        .value_kind:     hidden_block_count_y
      - .offset:         24
        .size:           4
        .value_kind:     hidden_block_count_z
      - .offset:         28
        .size:           2
        .value_kind:     hidden_group_size_x
      - .offset:         30
        .size:           2
        .value_kind:     hidden_group_size_y
      - .offset:         32
        .size:           2
        .value_kind:     hidden_group_size_z
      - .offset:         34
        .size:           2
        .value_kind:     hidden_remainder_x
      - .offset:         36
        .size:           2
        .value_kind:     hidden_remainder_y
      - .offset:         38
        .size:           2
        .value_kind:     hidden_remainder_z
      - .offset:         56
        .size:           8
        .value_kind:     hidden_global_offset_x
      - .offset:         64
        .size:           8
        .value_kind:     hidden_global_offset_y
      - .offset:         72
        .size:           8
        .value_kind:     hidden_global_offset_z
      - .offset:         80
        .size:           2
        .value_kind:     hidden_grid_dims
    .group_segment_fixed_size: 32
    .kernarg_segment_align: 8
    .kernarg_segment_size: 272
    .language:       OpenCL C
    .language_version:
      - 2
      - 0
    .max_flat_workgroup_size: 256
    .name:           _Z6kernelI6reduceILN6hipcub20BlockReduceAlgorithmE0EEiLj256ELj16ELj100EEvPKT0_PS4_
    .private_segment_fixed_size: 0
    .sgpr_count:     18
    .sgpr_spill_count: 0
    .symbol:         _Z6kernelI6reduceILN6hipcub20BlockReduceAlgorithmE0EEiLj256ELj16ELj100EEvPKT0_PS4_.kd
    .uniform_work_group_size: 1
    .uses_dynamic_stack: false
    .vgpr_count:     18
    .vgpr_spill_count: 0
    .wavefront_size: 32
    .workgroup_processor_mode: 1
  - .args:
      - .address_space:  global
        .offset:         0
        .size:           8
        .value_kind:     global_buffer
      - .address_space:  global
        .offset:         8
        .size:           8
        .value_kind:     global_buffer
      - .offset:         16
        .size:           4
        .value_kind:     hidden_block_count_x
      - .offset:         20
        .size:           4
        .value_kind:     hidden_block_count_y
      - .offset:         24
        .size:           4
        .value_kind:     hidden_block_count_z
      - .offset:         28
        .size:           2
        .value_kind:     hidden_group_size_x
      - .offset:         30
        .size:           2
        .value_kind:     hidden_group_size_y
      - .offset:         32
        .size:           2
        .value_kind:     hidden_group_size_z
      - .offset:         34
        .size:           2
        .value_kind:     hidden_remainder_x
      - .offset:         36
        .size:           2
        .value_kind:     hidden_remainder_y
      - .offset:         38
        .size:           2
        .value_kind:     hidden_remainder_z
      - .offset:         56
        .size:           8
        .value_kind:     hidden_global_offset_x
      - .offset:         64
        .size:           8
        .value_kind:     hidden_global_offset_y
      - .offset:         72
        .size:           8
        .value_kind:     hidden_global_offset_z
      - .offset:         80
        .size:           2
        .value_kind:     hidden_grid_dims
    .group_segment_fixed_size: 32
    .kernarg_segment_align: 8
    .kernarg_segment_size: 272
    .language:       OpenCL C
    .language_version:
      - 2
      - 0
    .max_flat_workgroup_size: 256
    .name:           _Z6kernelI6reduceILN6hipcub20BlockReduceAlgorithmE0EEfLj256ELj1ELj100EEvPKT0_PS4_
    .private_segment_fixed_size: 0
    .sgpr_count:     18
    .sgpr_spill_count: 0
    .symbol:         _Z6kernelI6reduceILN6hipcub20BlockReduceAlgorithmE0EEfLj256ELj1ELj100EEvPKT0_PS4_.kd
    .uniform_work_group_size: 1
    .uses_dynamic_stack: false
    .vgpr_count:     11
    .vgpr_spill_count: 0
    .wavefront_size: 32
    .workgroup_processor_mode: 1
  - .args:
      - .address_space:  global
        .offset:         0
        .size:           8
        .value_kind:     global_buffer
      - .address_space:  global
        .offset:         8
        .size:           8
        .value_kind:     global_buffer
      - .offset:         16
        .size:           4
        .value_kind:     hidden_block_count_x
      - .offset:         20
        .size:           4
        .value_kind:     hidden_block_count_y
      - .offset:         24
        .size:           4
        .value_kind:     hidden_block_count_z
      - .offset:         28
        .size:           2
        .value_kind:     hidden_group_size_x
      - .offset:         30
        .size:           2
        .value_kind:     hidden_group_size_y
      - .offset:         32
        .size:           2
        .value_kind:     hidden_group_size_z
      - .offset:         34
        .size:           2
        .value_kind:     hidden_remainder_x
      - .offset:         36
        .size:           2
        .value_kind:     hidden_remainder_y
      - .offset:         38
        .size:           2
        .value_kind:     hidden_remainder_z
      - .offset:         56
        .size:           8
        .value_kind:     hidden_global_offset_x
      - .offset:         64
        .size:           8
        .value_kind:     hidden_global_offset_y
      - .offset:         72
        .size:           8
        .value_kind:     hidden_global_offset_z
      - .offset:         80
        .size:           2
        .value_kind:     hidden_grid_dims
    .group_segment_fixed_size: 32
    .kernarg_segment_align: 8
    .kernarg_segment_size: 272
    .language:       OpenCL C
    .language_version:
      - 2
      - 0
    .max_flat_workgroup_size: 256
    .name:           _Z6kernelI6reduceILN6hipcub20BlockReduceAlgorithmE0EEfLj256ELj2ELj100EEvPKT0_PS4_
    .private_segment_fixed_size: 0
    .sgpr_count:     18
    .sgpr_spill_count: 0
    .symbol:         _Z6kernelI6reduceILN6hipcub20BlockReduceAlgorithmE0EEfLj256ELj2ELj100EEvPKT0_PS4_.kd
    .uniform_work_group_size: 1
    .uses_dynamic_stack: false
    .vgpr_count:     12
    .vgpr_spill_count: 0
    .wavefront_size: 32
    .workgroup_processor_mode: 1
  - .args:
      - .address_space:  global
        .offset:         0
        .size:           8
        .value_kind:     global_buffer
      - .address_space:  global
        .offset:         8
        .size:           8
        .value_kind:     global_buffer
      - .offset:         16
        .size:           4
        .value_kind:     hidden_block_count_x
      - .offset:         20
        .size:           4
        .value_kind:     hidden_block_count_y
      - .offset:         24
        .size:           4
        .value_kind:     hidden_block_count_z
      - .offset:         28
        .size:           2
        .value_kind:     hidden_group_size_x
      - .offset:         30
        .size:           2
        .value_kind:     hidden_group_size_y
      - .offset:         32
        .size:           2
        .value_kind:     hidden_group_size_z
      - .offset:         34
        .size:           2
        .value_kind:     hidden_remainder_x
      - .offset:         36
        .size:           2
        .value_kind:     hidden_remainder_y
      - .offset:         38
        .size:           2
        .value_kind:     hidden_remainder_z
      - .offset:         56
        .size:           8
        .value_kind:     hidden_global_offset_x
      - .offset:         64
        .size:           8
        .value_kind:     hidden_global_offset_y
      - .offset:         72
        .size:           8
        .value_kind:     hidden_global_offset_z
      - .offset:         80
        .size:           2
        .value_kind:     hidden_grid_dims
    .group_segment_fixed_size: 32
    .kernarg_segment_align: 8
    .kernarg_segment_size: 272
    .language:       OpenCL C
    .language_version:
      - 2
      - 0
    .max_flat_workgroup_size: 256
    .name:           _Z6kernelI6reduceILN6hipcub20BlockReduceAlgorithmE0EEfLj256ELj3ELj100EEvPKT0_PS4_
    .private_segment_fixed_size: 0
    .sgpr_count:     18
    .sgpr_spill_count: 0
    .symbol:         _Z6kernelI6reduceILN6hipcub20BlockReduceAlgorithmE0EEfLj256ELj3ELj100EEvPKT0_PS4_.kd
    .uniform_work_group_size: 1
    .uses_dynamic_stack: false
    .vgpr_count:     13
    .vgpr_spill_count: 0
    .wavefront_size: 32
    .workgroup_processor_mode: 1
  - .args:
      - .address_space:  global
        .offset:         0
        .size:           8
        .value_kind:     global_buffer
      - .address_space:  global
        .offset:         8
        .size:           8
        .value_kind:     global_buffer
      - .offset:         16
        .size:           4
        .value_kind:     hidden_block_count_x
      - .offset:         20
        .size:           4
        .value_kind:     hidden_block_count_y
      - .offset:         24
        .size:           4
        .value_kind:     hidden_block_count_z
      - .offset:         28
        .size:           2
        .value_kind:     hidden_group_size_x
      - .offset:         30
        .size:           2
        .value_kind:     hidden_group_size_y
      - .offset:         32
        .size:           2
        .value_kind:     hidden_group_size_z
      - .offset:         34
        .size:           2
        .value_kind:     hidden_remainder_x
      - .offset:         36
        .size:           2
        .value_kind:     hidden_remainder_y
      - .offset:         38
        .size:           2
        .value_kind:     hidden_remainder_z
      - .offset:         56
        .size:           8
        .value_kind:     hidden_global_offset_x
      - .offset:         64
        .size:           8
        .value_kind:     hidden_global_offset_y
      - .offset:         72
        .size:           8
        .value_kind:     hidden_global_offset_z
      - .offset:         80
        .size:           2
        .value_kind:     hidden_grid_dims
    .group_segment_fixed_size: 32
    .kernarg_segment_align: 8
    .kernarg_segment_size: 272
    .language:       OpenCL C
    .language_version:
      - 2
      - 0
    .max_flat_workgroup_size: 256
    .name:           _Z6kernelI6reduceILN6hipcub20BlockReduceAlgorithmE0EEfLj256ELj4ELj100EEvPKT0_PS4_
    .private_segment_fixed_size: 0
    .sgpr_count:     18
    .sgpr_spill_count: 0
    .symbol:         _Z6kernelI6reduceILN6hipcub20BlockReduceAlgorithmE0EEfLj256ELj4ELj100EEvPKT0_PS4_.kd
    .uniform_work_group_size: 1
    .uses_dynamic_stack: false
    .vgpr_count:     14
    .vgpr_spill_count: 0
    .wavefront_size: 32
    .workgroup_processor_mode: 1
  - .args:
      - .address_space:  global
        .offset:         0
        .size:           8
        .value_kind:     global_buffer
      - .address_space:  global
        .offset:         8
        .size:           8
        .value_kind:     global_buffer
      - .offset:         16
        .size:           4
        .value_kind:     hidden_block_count_x
      - .offset:         20
        .size:           4
        .value_kind:     hidden_block_count_y
      - .offset:         24
        .size:           4
        .value_kind:     hidden_block_count_z
      - .offset:         28
        .size:           2
        .value_kind:     hidden_group_size_x
      - .offset:         30
        .size:           2
        .value_kind:     hidden_group_size_y
      - .offset:         32
        .size:           2
        .value_kind:     hidden_group_size_z
      - .offset:         34
        .size:           2
        .value_kind:     hidden_remainder_x
      - .offset:         36
        .size:           2
        .value_kind:     hidden_remainder_y
      - .offset:         38
        .size:           2
        .value_kind:     hidden_remainder_z
      - .offset:         56
        .size:           8
        .value_kind:     hidden_global_offset_x
      - .offset:         64
        .size:           8
        .value_kind:     hidden_global_offset_y
      - .offset:         72
        .size:           8
        .value_kind:     hidden_global_offset_z
      - .offset:         80
        .size:           2
        .value_kind:     hidden_grid_dims
    .group_segment_fixed_size: 32
    .kernarg_segment_align: 8
    .kernarg_segment_size: 272
    .language:       OpenCL C
    .language_version:
      - 2
      - 0
    .max_flat_workgroup_size: 256
    .name:           _Z6kernelI6reduceILN6hipcub20BlockReduceAlgorithmE0EEfLj256ELj8ELj100EEvPKT0_PS4_
    .private_segment_fixed_size: 0
    .sgpr_count:     18
    .sgpr_spill_count: 0
    .symbol:         _Z6kernelI6reduceILN6hipcub20BlockReduceAlgorithmE0EEfLj256ELj8ELj100EEvPKT0_PS4_.kd
    .uniform_work_group_size: 1
    .uses_dynamic_stack: false
    .vgpr_count:     18
    .vgpr_spill_count: 0
    .wavefront_size: 32
    .workgroup_processor_mode: 1
  - .args:
      - .address_space:  global
        .offset:         0
        .size:           8
        .value_kind:     global_buffer
      - .address_space:  global
        .offset:         8
        .size:           8
        .value_kind:     global_buffer
      - .offset:         16
        .size:           4
        .value_kind:     hidden_block_count_x
      - .offset:         20
        .size:           4
        .value_kind:     hidden_block_count_y
      - .offset:         24
        .size:           4
        .value_kind:     hidden_block_count_z
      - .offset:         28
        .size:           2
        .value_kind:     hidden_group_size_x
      - .offset:         30
        .size:           2
        .value_kind:     hidden_group_size_y
      - .offset:         32
        .size:           2
        .value_kind:     hidden_group_size_z
      - .offset:         34
        .size:           2
        .value_kind:     hidden_remainder_x
      - .offset:         36
        .size:           2
        .value_kind:     hidden_remainder_y
      - .offset:         38
        .size:           2
        .value_kind:     hidden_remainder_z
      - .offset:         56
        .size:           8
        .value_kind:     hidden_global_offset_x
      - .offset:         64
        .size:           8
        .value_kind:     hidden_global_offset_y
      - .offset:         72
        .size:           8
        .value_kind:     hidden_global_offset_z
      - .offset:         80
        .size:           2
        .value_kind:     hidden_grid_dims
    .group_segment_fixed_size: 32
    .kernarg_segment_align: 8
    .kernarg_segment_size: 272
    .language:       OpenCL C
    .language_version:
      - 2
      - 0
    .max_flat_workgroup_size: 256
    .name:           _Z6kernelI6reduceILN6hipcub20BlockReduceAlgorithmE0EEfLj256ELj11ELj100EEvPKT0_PS4_
    .private_segment_fixed_size: 0
    .sgpr_count:     18
    .sgpr_spill_count: 0
    .symbol:         _Z6kernelI6reduceILN6hipcub20BlockReduceAlgorithmE0EEfLj256ELj11ELj100EEvPKT0_PS4_.kd
    .uniform_work_group_size: 1
    .uses_dynamic_stack: false
    .vgpr_count:     27
    .vgpr_spill_count: 0
    .wavefront_size: 32
    .workgroup_processor_mode: 1
  - .args:
      - .address_space:  global
        .offset:         0
        .size:           8
        .value_kind:     global_buffer
      - .address_space:  global
        .offset:         8
        .size:           8
        .value_kind:     global_buffer
      - .offset:         16
        .size:           4
        .value_kind:     hidden_block_count_x
      - .offset:         20
        .size:           4
        .value_kind:     hidden_block_count_y
      - .offset:         24
        .size:           4
        .value_kind:     hidden_block_count_z
      - .offset:         28
        .size:           2
        .value_kind:     hidden_group_size_x
      - .offset:         30
        .size:           2
        .value_kind:     hidden_group_size_y
      - .offset:         32
        .size:           2
        .value_kind:     hidden_group_size_z
      - .offset:         34
        .size:           2
        .value_kind:     hidden_remainder_x
      - .offset:         36
        .size:           2
        .value_kind:     hidden_remainder_y
      - .offset:         38
        .size:           2
        .value_kind:     hidden_remainder_z
      - .offset:         56
        .size:           8
        .value_kind:     hidden_global_offset_x
      - .offset:         64
        .size:           8
        .value_kind:     hidden_global_offset_y
      - .offset:         72
        .size:           8
        .value_kind:     hidden_global_offset_z
      - .offset:         80
        .size:           2
        .value_kind:     hidden_grid_dims
    .group_segment_fixed_size: 32
    .kernarg_segment_align: 8
    .kernarg_segment_size: 272
    .language:       OpenCL C
    .language_version:
      - 2
      - 0
    .max_flat_workgroup_size: 256
    .name:           _Z6kernelI6reduceILN6hipcub20BlockReduceAlgorithmE0EEfLj256ELj16ELj100EEvPKT0_PS4_
    .private_segment_fixed_size: 0
    .sgpr_count:     18
    .sgpr_spill_count: 0
    .symbol:         _Z6kernelI6reduceILN6hipcub20BlockReduceAlgorithmE0EEfLj256ELj16ELj100EEvPKT0_PS4_.kd
    .uniform_work_group_size: 1
    .uses_dynamic_stack: false
    .vgpr_count:     26
    .vgpr_spill_count: 0
    .wavefront_size: 32
    .workgroup_processor_mode: 1
  - .args:
      - .address_space:  global
        .offset:         0
        .size:           8
        .value_kind:     global_buffer
      - .address_space:  global
        .offset:         8
        .size:           8
        .value_kind:     global_buffer
      - .offset:         16
        .size:           4
        .value_kind:     hidden_block_count_x
      - .offset:         20
        .size:           4
        .value_kind:     hidden_block_count_y
      - .offset:         24
        .size:           4
        .value_kind:     hidden_block_count_z
      - .offset:         28
        .size:           2
        .value_kind:     hidden_group_size_x
      - .offset:         30
        .size:           2
        .value_kind:     hidden_group_size_y
      - .offset:         32
        .size:           2
        .value_kind:     hidden_group_size_z
      - .offset:         34
        .size:           2
        .value_kind:     hidden_remainder_x
      - .offset:         36
        .size:           2
        .value_kind:     hidden_remainder_y
      - .offset:         38
        .size:           2
        .value_kind:     hidden_remainder_z
      - .offset:         56
        .size:           8
        .value_kind:     hidden_global_offset_x
      - .offset:         64
        .size:           8
        .value_kind:     hidden_global_offset_y
      - .offset:         72
        .size:           8
        .value_kind:     hidden_global_offset_z
      - .offset:         80
        .size:           2
        .value_kind:     hidden_grid_dims
    .group_segment_fixed_size: 64
    .kernarg_segment_align: 8
    .kernarg_segment_size: 272
    .language:       OpenCL C
    .language_version:
      - 2
      - 0
    .max_flat_workgroup_size: 256
    .name:           _Z6kernelI6reduceILN6hipcub20BlockReduceAlgorithmE0EEdLj256ELj1ELj100EEvPKT0_PS4_
    .private_segment_fixed_size: 0
    .sgpr_count:     18
    .sgpr_spill_count: 0
    .symbol:         _Z6kernelI6reduceILN6hipcub20BlockReduceAlgorithmE0EEdLj256ELj1ELj100EEvPKT0_PS4_.kd
    .uniform_work_group_size: 1
    .uses_dynamic_stack: false
    .vgpr_count:     12
    .vgpr_spill_count: 0
    .wavefront_size: 32
    .workgroup_processor_mode: 1
  - .args:
      - .address_space:  global
        .offset:         0
        .size:           8
        .value_kind:     global_buffer
      - .address_space:  global
        .offset:         8
        .size:           8
        .value_kind:     global_buffer
      - .offset:         16
        .size:           4
        .value_kind:     hidden_block_count_x
      - .offset:         20
        .size:           4
        .value_kind:     hidden_block_count_y
      - .offset:         24
        .size:           4
        .value_kind:     hidden_block_count_z
      - .offset:         28
        .size:           2
        .value_kind:     hidden_group_size_x
      - .offset:         30
        .size:           2
        .value_kind:     hidden_group_size_y
      - .offset:         32
        .size:           2
        .value_kind:     hidden_group_size_z
      - .offset:         34
        .size:           2
        .value_kind:     hidden_remainder_x
      - .offset:         36
        .size:           2
        .value_kind:     hidden_remainder_y
      - .offset:         38
        .size:           2
        .value_kind:     hidden_remainder_z
      - .offset:         56
        .size:           8
        .value_kind:     hidden_global_offset_x
      - .offset:         64
        .size:           8
        .value_kind:     hidden_global_offset_y
      - .offset:         72
        .size:           8
        .value_kind:     hidden_global_offset_z
      - .offset:         80
        .size:           2
        .value_kind:     hidden_grid_dims
    .group_segment_fixed_size: 64
    .kernarg_segment_align: 8
    .kernarg_segment_size: 272
    .language:       OpenCL C
    .language_version:
      - 2
      - 0
    .max_flat_workgroup_size: 256
    .name:           _Z6kernelI6reduceILN6hipcub20BlockReduceAlgorithmE0EEdLj256ELj2ELj100EEvPKT0_PS4_
    .private_segment_fixed_size: 0
    .sgpr_count:     18
    .sgpr_spill_count: 0
    .symbol:         _Z6kernelI6reduceILN6hipcub20BlockReduceAlgorithmE0EEdLj256ELj2ELj100EEvPKT0_PS4_.kd
    .uniform_work_group_size: 1
    .uses_dynamic_stack: false
    .vgpr_count:     14
    .vgpr_spill_count: 0
    .wavefront_size: 32
    .workgroup_processor_mode: 1
  - .args:
      - .address_space:  global
        .offset:         0
        .size:           8
        .value_kind:     global_buffer
      - .address_space:  global
        .offset:         8
        .size:           8
        .value_kind:     global_buffer
      - .offset:         16
        .size:           4
        .value_kind:     hidden_block_count_x
      - .offset:         20
        .size:           4
        .value_kind:     hidden_block_count_y
      - .offset:         24
        .size:           4
        .value_kind:     hidden_block_count_z
      - .offset:         28
        .size:           2
        .value_kind:     hidden_group_size_x
      - .offset:         30
        .size:           2
        .value_kind:     hidden_group_size_y
      - .offset:         32
        .size:           2
        .value_kind:     hidden_group_size_z
      - .offset:         34
        .size:           2
        .value_kind:     hidden_remainder_x
      - .offset:         36
        .size:           2
        .value_kind:     hidden_remainder_y
      - .offset:         38
        .size:           2
        .value_kind:     hidden_remainder_z
      - .offset:         56
        .size:           8
        .value_kind:     hidden_global_offset_x
      - .offset:         64
        .size:           8
        .value_kind:     hidden_global_offset_y
      - .offset:         72
        .size:           8
        .value_kind:     hidden_global_offset_z
      - .offset:         80
        .size:           2
        .value_kind:     hidden_grid_dims
    .group_segment_fixed_size: 64
    .kernarg_segment_align: 8
    .kernarg_segment_size: 272
    .language:       OpenCL C
    .language_version:
      - 2
      - 0
    .max_flat_workgroup_size: 256
    .name:           _Z6kernelI6reduceILN6hipcub20BlockReduceAlgorithmE0EEdLj256ELj3ELj100EEvPKT0_PS4_
    .private_segment_fixed_size: 0
    .sgpr_count:     18
    .sgpr_spill_count: 0
    .symbol:         _Z6kernelI6reduceILN6hipcub20BlockReduceAlgorithmE0EEdLj256ELj3ELj100EEvPKT0_PS4_.kd
    .uniform_work_group_size: 1
    .uses_dynamic_stack: false
    .vgpr_count:     16
    .vgpr_spill_count: 0
    .wavefront_size: 32
    .workgroup_processor_mode: 1
  - .args:
      - .address_space:  global
        .offset:         0
        .size:           8
        .value_kind:     global_buffer
      - .address_space:  global
        .offset:         8
        .size:           8
        .value_kind:     global_buffer
      - .offset:         16
        .size:           4
        .value_kind:     hidden_block_count_x
      - .offset:         20
        .size:           4
        .value_kind:     hidden_block_count_y
      - .offset:         24
        .size:           4
        .value_kind:     hidden_block_count_z
      - .offset:         28
        .size:           2
        .value_kind:     hidden_group_size_x
      - .offset:         30
        .size:           2
        .value_kind:     hidden_group_size_y
      - .offset:         32
        .size:           2
        .value_kind:     hidden_group_size_z
      - .offset:         34
        .size:           2
        .value_kind:     hidden_remainder_x
      - .offset:         36
        .size:           2
        .value_kind:     hidden_remainder_y
      - .offset:         38
        .size:           2
        .value_kind:     hidden_remainder_z
      - .offset:         56
        .size:           8
        .value_kind:     hidden_global_offset_x
      - .offset:         64
        .size:           8
        .value_kind:     hidden_global_offset_y
      - .offset:         72
        .size:           8
        .value_kind:     hidden_global_offset_z
      - .offset:         80
        .size:           2
        .value_kind:     hidden_grid_dims
    .group_segment_fixed_size: 64
    .kernarg_segment_align: 8
    .kernarg_segment_size: 272
    .language:       OpenCL C
    .language_version:
      - 2
      - 0
    .max_flat_workgroup_size: 256
    .name:           _Z6kernelI6reduceILN6hipcub20BlockReduceAlgorithmE0EEdLj256ELj4ELj100EEvPKT0_PS4_
    .private_segment_fixed_size: 0
    .sgpr_count:     18
    .sgpr_spill_count: 0
    .symbol:         _Z6kernelI6reduceILN6hipcub20BlockReduceAlgorithmE0EEdLj256ELj4ELj100EEvPKT0_PS4_.kd
    .uniform_work_group_size: 1
    .uses_dynamic_stack: false
    .vgpr_count:     18
    .vgpr_spill_count: 0
    .wavefront_size: 32
    .workgroup_processor_mode: 1
  - .args:
      - .address_space:  global
        .offset:         0
        .size:           8
        .value_kind:     global_buffer
      - .address_space:  global
        .offset:         8
        .size:           8
        .value_kind:     global_buffer
      - .offset:         16
        .size:           4
        .value_kind:     hidden_block_count_x
      - .offset:         20
        .size:           4
        .value_kind:     hidden_block_count_y
      - .offset:         24
        .size:           4
        .value_kind:     hidden_block_count_z
      - .offset:         28
        .size:           2
        .value_kind:     hidden_group_size_x
      - .offset:         30
        .size:           2
        .value_kind:     hidden_group_size_y
      - .offset:         32
        .size:           2
        .value_kind:     hidden_group_size_z
      - .offset:         34
        .size:           2
        .value_kind:     hidden_remainder_x
      - .offset:         36
        .size:           2
        .value_kind:     hidden_remainder_y
      - .offset:         38
        .size:           2
        .value_kind:     hidden_remainder_z
      - .offset:         56
        .size:           8
        .value_kind:     hidden_global_offset_x
      - .offset:         64
        .size:           8
        .value_kind:     hidden_global_offset_y
      - .offset:         72
        .size:           8
        .value_kind:     hidden_global_offset_z
      - .offset:         80
        .size:           2
        .value_kind:     hidden_grid_dims
    .group_segment_fixed_size: 64
    .kernarg_segment_align: 8
    .kernarg_segment_size: 272
    .language:       OpenCL C
    .language_version:
      - 2
      - 0
    .max_flat_workgroup_size: 256
    .name:           _Z6kernelI6reduceILN6hipcub20BlockReduceAlgorithmE0EEdLj256ELj8ELj100EEvPKT0_PS4_
    .private_segment_fixed_size: 0
    .sgpr_count:     18
    .sgpr_spill_count: 0
    .symbol:         _Z6kernelI6reduceILN6hipcub20BlockReduceAlgorithmE0EEdLj256ELj8ELj100EEvPKT0_PS4_.kd
    .uniform_work_group_size: 1
    .uses_dynamic_stack: false
    .vgpr_count:     26
    .vgpr_spill_count: 0
    .wavefront_size: 32
    .workgroup_processor_mode: 1
  - .args:
      - .address_space:  global
        .offset:         0
        .size:           8
        .value_kind:     global_buffer
      - .address_space:  global
        .offset:         8
        .size:           8
        .value_kind:     global_buffer
      - .offset:         16
        .size:           4
        .value_kind:     hidden_block_count_x
      - .offset:         20
        .size:           4
        .value_kind:     hidden_block_count_y
      - .offset:         24
        .size:           4
        .value_kind:     hidden_block_count_z
      - .offset:         28
        .size:           2
        .value_kind:     hidden_group_size_x
      - .offset:         30
        .size:           2
        .value_kind:     hidden_group_size_y
      - .offset:         32
        .size:           2
        .value_kind:     hidden_group_size_z
      - .offset:         34
        .size:           2
        .value_kind:     hidden_remainder_x
      - .offset:         36
        .size:           2
        .value_kind:     hidden_remainder_y
      - .offset:         38
        .size:           2
        .value_kind:     hidden_remainder_z
      - .offset:         56
        .size:           8
        .value_kind:     hidden_global_offset_x
      - .offset:         64
        .size:           8
        .value_kind:     hidden_global_offset_y
      - .offset:         72
        .size:           8
        .value_kind:     hidden_global_offset_z
      - .offset:         80
        .size:           2
        .value_kind:     hidden_grid_dims
    .group_segment_fixed_size: 64
    .kernarg_segment_align: 8
    .kernarg_segment_size: 272
    .language:       OpenCL C
    .language_version:
      - 2
      - 0
    .max_flat_workgroup_size: 256
    .name:           _Z6kernelI6reduceILN6hipcub20BlockReduceAlgorithmE0EEdLj256ELj11ELj100EEvPKT0_PS4_
    .private_segment_fixed_size: 0
    .sgpr_count:     18
    .sgpr_spill_count: 0
    .symbol:         _Z6kernelI6reduceILN6hipcub20BlockReduceAlgorithmE0EEdLj256ELj11ELj100EEvPKT0_PS4_.kd
    .uniform_work_group_size: 1
    .uses_dynamic_stack: false
    .vgpr_count:     32
    .vgpr_spill_count: 0
    .wavefront_size: 32
    .workgroup_processor_mode: 1
  - .args:
      - .address_space:  global
        .offset:         0
        .size:           8
        .value_kind:     global_buffer
      - .address_space:  global
        .offset:         8
        .size:           8
        .value_kind:     global_buffer
      - .offset:         16
        .size:           4
        .value_kind:     hidden_block_count_x
      - .offset:         20
        .size:           4
        .value_kind:     hidden_block_count_y
      - .offset:         24
        .size:           4
        .value_kind:     hidden_block_count_z
      - .offset:         28
        .size:           2
        .value_kind:     hidden_group_size_x
      - .offset:         30
        .size:           2
        .value_kind:     hidden_group_size_y
      - .offset:         32
        .size:           2
        .value_kind:     hidden_group_size_z
      - .offset:         34
        .size:           2
        .value_kind:     hidden_remainder_x
      - .offset:         36
        .size:           2
        .value_kind:     hidden_remainder_y
      - .offset:         38
        .size:           2
        .value_kind:     hidden_remainder_z
      - .offset:         56
        .size:           8
        .value_kind:     hidden_global_offset_x
      - .offset:         64
        .size:           8
        .value_kind:     hidden_global_offset_y
      - .offset:         72
        .size:           8
        .value_kind:     hidden_global_offset_z
      - .offset:         80
        .size:           2
        .value_kind:     hidden_grid_dims
    .group_segment_fixed_size: 64
    .kernarg_segment_align: 8
    .kernarg_segment_size: 272
    .language:       OpenCL C
    .language_version:
      - 2
      - 0
    .max_flat_workgroup_size: 256
    .name:           _Z6kernelI6reduceILN6hipcub20BlockReduceAlgorithmE0EEdLj256ELj16ELj100EEvPKT0_PS4_
    .private_segment_fixed_size: 0
    .sgpr_count:     18
    .sgpr_spill_count: 0
    .symbol:         _Z6kernelI6reduceILN6hipcub20BlockReduceAlgorithmE0EEdLj256ELj16ELj100EEvPKT0_PS4_.kd
    .uniform_work_group_size: 1
    .uses_dynamic_stack: false
    .vgpr_count:     42
    .vgpr_spill_count: 0
    .wavefront_size: 32
    .workgroup_processor_mode: 1
  - .args:
      - .address_space:  global
        .offset:         0
        .size:           8
        .value_kind:     global_buffer
      - .address_space:  global
        .offset:         8
        .size:           8
        .value_kind:     global_buffer
      - .offset:         16
        .size:           4
        .value_kind:     hidden_block_count_x
      - .offset:         20
        .size:           4
        .value_kind:     hidden_block_count_y
      - .offset:         24
        .size:           4
        .value_kind:     hidden_block_count_z
      - .offset:         28
        .size:           2
        .value_kind:     hidden_group_size_x
      - .offset:         30
        .size:           2
        .value_kind:     hidden_group_size_y
      - .offset:         32
        .size:           2
        .value_kind:     hidden_group_size_z
      - .offset:         34
        .size:           2
        .value_kind:     hidden_remainder_x
      - .offset:         36
        .size:           2
        .value_kind:     hidden_remainder_y
      - .offset:         38
        .size:           2
        .value_kind:     hidden_remainder_z
      - .offset:         56
        .size:           8
        .value_kind:     hidden_global_offset_x
      - .offset:         64
        .size:           8
        .value_kind:     hidden_global_offset_y
      - .offset:         72
        .size:           8
        .value_kind:     hidden_global_offset_z
      - .offset:         80
        .size:           2
        .value_kind:     hidden_grid_dims
    .group_segment_fixed_size: 8
    .kernarg_segment_align: 8
    .kernarg_segment_size: 272
    .language:       OpenCL C
    .language_version:
      - 2
      - 0
    .max_flat_workgroup_size: 256
    .name:           _Z6kernelI6reduceILN6hipcub20BlockReduceAlgorithmE0EEaLj256ELj1ELj100EEvPKT0_PS4_
    .private_segment_fixed_size: 0
    .sgpr_count:     18
    .sgpr_spill_count: 0
    .symbol:         _Z6kernelI6reduceILN6hipcub20BlockReduceAlgorithmE0EEaLj256ELj1ELj100EEvPKT0_PS4_.kd
    .uniform_work_group_size: 1
    .uses_dynamic_stack: false
    .vgpr_count:     10
    .vgpr_spill_count: 0
    .wavefront_size: 32
    .workgroup_processor_mode: 1
  - .args:
      - .address_space:  global
        .offset:         0
        .size:           8
        .value_kind:     global_buffer
      - .address_space:  global
        .offset:         8
        .size:           8
        .value_kind:     global_buffer
      - .offset:         16
        .size:           4
        .value_kind:     hidden_block_count_x
      - .offset:         20
        .size:           4
        .value_kind:     hidden_block_count_y
      - .offset:         24
        .size:           4
        .value_kind:     hidden_block_count_z
      - .offset:         28
        .size:           2
        .value_kind:     hidden_group_size_x
      - .offset:         30
        .size:           2
        .value_kind:     hidden_group_size_y
      - .offset:         32
        .size:           2
        .value_kind:     hidden_group_size_z
      - .offset:         34
        .size:           2
        .value_kind:     hidden_remainder_x
      - .offset:         36
        .size:           2
        .value_kind:     hidden_remainder_y
      - .offset:         38
        .size:           2
        .value_kind:     hidden_remainder_z
      - .offset:         56
        .size:           8
        .value_kind:     hidden_global_offset_x
      - .offset:         64
        .size:           8
        .value_kind:     hidden_global_offset_y
      - .offset:         72
        .size:           8
        .value_kind:     hidden_global_offset_z
      - .offset:         80
        .size:           2
        .value_kind:     hidden_grid_dims
    .group_segment_fixed_size: 8
    .kernarg_segment_align: 8
    .kernarg_segment_size: 272
    .language:       OpenCL C
    .language_version:
      - 2
      - 0
    .max_flat_workgroup_size: 256
    .name:           _Z6kernelI6reduceILN6hipcub20BlockReduceAlgorithmE0EEaLj256ELj2ELj100EEvPKT0_PS4_
    .private_segment_fixed_size: 0
    .sgpr_count:     18
    .sgpr_spill_count: 0
    .symbol:         _Z6kernelI6reduceILN6hipcub20BlockReduceAlgorithmE0EEaLj256ELj2ELj100EEvPKT0_PS4_.kd
    .uniform_work_group_size: 1
    .uses_dynamic_stack: false
    .vgpr_count:     10
    .vgpr_spill_count: 0
    .wavefront_size: 32
    .workgroup_processor_mode: 1
  - .args:
      - .address_space:  global
        .offset:         0
        .size:           8
        .value_kind:     global_buffer
      - .address_space:  global
        .offset:         8
        .size:           8
        .value_kind:     global_buffer
      - .offset:         16
        .size:           4
        .value_kind:     hidden_block_count_x
      - .offset:         20
        .size:           4
        .value_kind:     hidden_block_count_y
      - .offset:         24
        .size:           4
        .value_kind:     hidden_block_count_z
      - .offset:         28
        .size:           2
        .value_kind:     hidden_group_size_x
      - .offset:         30
        .size:           2
        .value_kind:     hidden_group_size_y
      - .offset:         32
        .size:           2
        .value_kind:     hidden_group_size_z
      - .offset:         34
        .size:           2
        .value_kind:     hidden_remainder_x
      - .offset:         36
        .size:           2
        .value_kind:     hidden_remainder_y
      - .offset:         38
        .size:           2
        .value_kind:     hidden_remainder_z
      - .offset:         56
        .size:           8
        .value_kind:     hidden_global_offset_x
      - .offset:         64
        .size:           8
        .value_kind:     hidden_global_offset_y
      - .offset:         72
        .size:           8
        .value_kind:     hidden_global_offset_z
      - .offset:         80
        .size:           2
        .value_kind:     hidden_grid_dims
    .group_segment_fixed_size: 8
    .kernarg_segment_align: 8
    .kernarg_segment_size: 272
    .language:       OpenCL C
    .language_version:
      - 2
      - 0
    .max_flat_workgroup_size: 256
    .name:           _Z6kernelI6reduceILN6hipcub20BlockReduceAlgorithmE0EEaLj256ELj3ELj100EEvPKT0_PS4_
    .private_segment_fixed_size: 0
    .sgpr_count:     18
    .sgpr_spill_count: 0
    .symbol:         _Z6kernelI6reduceILN6hipcub20BlockReduceAlgorithmE0EEaLj256ELj3ELj100EEvPKT0_PS4_.kd
    .uniform_work_group_size: 1
    .uses_dynamic_stack: false
    .vgpr_count:     11
    .vgpr_spill_count: 0
    .wavefront_size: 32
    .workgroup_processor_mode: 1
  - .args:
      - .address_space:  global
        .offset:         0
        .size:           8
        .value_kind:     global_buffer
      - .address_space:  global
        .offset:         8
        .size:           8
        .value_kind:     global_buffer
      - .offset:         16
        .size:           4
        .value_kind:     hidden_block_count_x
      - .offset:         20
        .size:           4
        .value_kind:     hidden_block_count_y
      - .offset:         24
        .size:           4
        .value_kind:     hidden_block_count_z
      - .offset:         28
        .size:           2
        .value_kind:     hidden_group_size_x
      - .offset:         30
        .size:           2
        .value_kind:     hidden_group_size_y
      - .offset:         32
        .size:           2
        .value_kind:     hidden_group_size_z
      - .offset:         34
        .size:           2
        .value_kind:     hidden_remainder_x
      - .offset:         36
        .size:           2
        .value_kind:     hidden_remainder_y
      - .offset:         38
        .size:           2
        .value_kind:     hidden_remainder_z
      - .offset:         56
        .size:           8
        .value_kind:     hidden_global_offset_x
      - .offset:         64
        .size:           8
        .value_kind:     hidden_global_offset_y
      - .offset:         72
        .size:           8
        .value_kind:     hidden_global_offset_z
      - .offset:         80
        .size:           2
        .value_kind:     hidden_grid_dims
    .group_segment_fixed_size: 8
    .kernarg_segment_align: 8
    .kernarg_segment_size: 272
    .language:       OpenCL C
    .language_version:
      - 2
      - 0
    .max_flat_workgroup_size: 256
    .name:           _Z6kernelI6reduceILN6hipcub20BlockReduceAlgorithmE0EEaLj256ELj4ELj100EEvPKT0_PS4_
    .private_segment_fixed_size: 0
    .sgpr_count:     18
    .sgpr_spill_count: 0
    .symbol:         _Z6kernelI6reduceILN6hipcub20BlockReduceAlgorithmE0EEaLj256ELj4ELj100EEvPKT0_PS4_.kd
    .uniform_work_group_size: 1
    .uses_dynamic_stack: false
    .vgpr_count:     10
    .vgpr_spill_count: 0
    .wavefront_size: 32
    .workgroup_processor_mode: 1
  - .args:
      - .address_space:  global
        .offset:         0
        .size:           8
        .value_kind:     global_buffer
      - .address_space:  global
        .offset:         8
        .size:           8
        .value_kind:     global_buffer
      - .offset:         16
        .size:           4
        .value_kind:     hidden_block_count_x
      - .offset:         20
        .size:           4
        .value_kind:     hidden_block_count_y
      - .offset:         24
        .size:           4
        .value_kind:     hidden_block_count_z
      - .offset:         28
        .size:           2
        .value_kind:     hidden_group_size_x
      - .offset:         30
        .size:           2
        .value_kind:     hidden_group_size_y
      - .offset:         32
        .size:           2
        .value_kind:     hidden_group_size_z
      - .offset:         34
        .size:           2
        .value_kind:     hidden_remainder_x
      - .offset:         36
        .size:           2
        .value_kind:     hidden_remainder_y
      - .offset:         38
        .size:           2
        .value_kind:     hidden_remainder_z
      - .offset:         56
        .size:           8
        .value_kind:     hidden_global_offset_x
      - .offset:         64
        .size:           8
        .value_kind:     hidden_global_offset_y
      - .offset:         72
        .size:           8
        .value_kind:     hidden_global_offset_z
      - .offset:         80
        .size:           2
        .value_kind:     hidden_grid_dims
    .group_segment_fixed_size: 8
    .kernarg_segment_align: 8
    .kernarg_segment_size: 272
    .language:       OpenCL C
    .language_version:
      - 2
      - 0
    .max_flat_workgroup_size: 256
    .name:           _Z6kernelI6reduceILN6hipcub20BlockReduceAlgorithmE0EEaLj256ELj8ELj100EEvPKT0_PS4_
    .private_segment_fixed_size: 0
    .sgpr_count:     18
    .sgpr_spill_count: 0
    .symbol:         _Z6kernelI6reduceILN6hipcub20BlockReduceAlgorithmE0EEaLj256ELj8ELj100EEvPKT0_PS4_.kd
    .uniform_work_group_size: 1
    .uses_dynamic_stack: false
    .vgpr_count:     12
    .vgpr_spill_count: 0
    .wavefront_size: 32
    .workgroup_processor_mode: 1
  - .args:
      - .address_space:  global
        .offset:         0
        .size:           8
        .value_kind:     global_buffer
      - .address_space:  global
        .offset:         8
        .size:           8
        .value_kind:     global_buffer
      - .offset:         16
        .size:           4
        .value_kind:     hidden_block_count_x
      - .offset:         20
        .size:           4
        .value_kind:     hidden_block_count_y
      - .offset:         24
        .size:           4
        .value_kind:     hidden_block_count_z
      - .offset:         28
        .size:           2
        .value_kind:     hidden_group_size_x
      - .offset:         30
        .size:           2
        .value_kind:     hidden_group_size_y
      - .offset:         32
        .size:           2
        .value_kind:     hidden_group_size_z
      - .offset:         34
        .size:           2
        .value_kind:     hidden_remainder_x
      - .offset:         36
        .size:           2
        .value_kind:     hidden_remainder_y
      - .offset:         38
        .size:           2
        .value_kind:     hidden_remainder_z
      - .offset:         56
        .size:           8
        .value_kind:     hidden_global_offset_x
      - .offset:         64
        .size:           8
        .value_kind:     hidden_global_offset_y
      - .offset:         72
        .size:           8
        .value_kind:     hidden_global_offset_z
      - .offset:         80
        .size:           2
        .value_kind:     hidden_grid_dims
    .group_segment_fixed_size: 8
    .kernarg_segment_align: 8
    .kernarg_segment_size: 272
    .language:       OpenCL C
    .language_version:
      - 2
      - 0
    .max_flat_workgroup_size: 256
    .name:           _Z6kernelI6reduceILN6hipcub20BlockReduceAlgorithmE0EEaLj256ELj11ELj100EEvPKT0_PS4_
    .private_segment_fixed_size: 0
    .sgpr_count:     18
    .sgpr_spill_count: 0
    .symbol:         _Z6kernelI6reduceILN6hipcub20BlockReduceAlgorithmE0EEaLj256ELj11ELj100EEvPKT0_PS4_.kd
    .uniform_work_group_size: 1
    .uses_dynamic_stack: false
    .vgpr_count:     19
    .vgpr_spill_count: 0
    .wavefront_size: 32
    .workgroup_processor_mode: 1
  - .args:
      - .address_space:  global
        .offset:         0
        .size:           8
        .value_kind:     global_buffer
      - .address_space:  global
        .offset:         8
        .size:           8
        .value_kind:     global_buffer
      - .offset:         16
        .size:           4
        .value_kind:     hidden_block_count_x
      - .offset:         20
        .size:           4
        .value_kind:     hidden_block_count_y
      - .offset:         24
        .size:           4
        .value_kind:     hidden_block_count_z
      - .offset:         28
        .size:           2
        .value_kind:     hidden_group_size_x
      - .offset:         30
        .size:           2
        .value_kind:     hidden_group_size_y
      - .offset:         32
        .size:           2
        .value_kind:     hidden_group_size_z
      - .offset:         34
        .size:           2
        .value_kind:     hidden_remainder_x
      - .offset:         36
        .size:           2
        .value_kind:     hidden_remainder_y
      - .offset:         38
        .size:           2
        .value_kind:     hidden_remainder_z
      - .offset:         56
        .size:           8
        .value_kind:     hidden_global_offset_x
      - .offset:         64
        .size:           8
        .value_kind:     hidden_global_offset_y
      - .offset:         72
        .size:           8
        .value_kind:     hidden_global_offset_z
      - .offset:         80
        .size:           2
        .value_kind:     hidden_grid_dims
    .group_segment_fixed_size: 8
    .kernarg_segment_align: 8
    .kernarg_segment_size: 272
    .language:       OpenCL C
    .language_version:
      - 2
      - 0
    .max_flat_workgroup_size: 256
    .name:           _Z6kernelI6reduceILN6hipcub20BlockReduceAlgorithmE0EEaLj256ELj16ELj100EEvPKT0_PS4_
    .private_segment_fixed_size: 0
    .sgpr_count:     18
    .sgpr_spill_count: 0
    .symbol:         _Z6kernelI6reduceILN6hipcub20BlockReduceAlgorithmE0EEaLj256ELj16ELj100EEvPKT0_PS4_.kd
    .uniform_work_group_size: 1
    .uses_dynamic_stack: false
    .vgpr_count:     14
    .vgpr_spill_count: 0
    .wavefront_size: 32
    .workgroup_processor_mode: 1
  - .args:
      - .address_space:  global
        .offset:         0
        .size:           8
        .value_kind:     global_buffer
      - .address_space:  global
        .offset:         8
        .size:           8
        .value_kind:     global_buffer
      - .offset:         16
        .size:           4
        .value_kind:     hidden_block_count_x
      - .offset:         20
        .size:           4
        .value_kind:     hidden_block_count_y
      - .offset:         24
        .size:           4
        .value_kind:     hidden_block_count_z
      - .offset:         28
        .size:           2
        .value_kind:     hidden_group_size_x
      - .offset:         30
        .size:           2
        .value_kind:     hidden_group_size_y
      - .offset:         32
        .size:           2
        .value_kind:     hidden_group_size_z
      - .offset:         34
        .size:           2
        .value_kind:     hidden_remainder_x
      - .offset:         36
        .size:           2
        .value_kind:     hidden_remainder_y
      - .offset:         38
        .size:           2
        .value_kind:     hidden_remainder_z
      - .offset:         56
        .size:           8
        .value_kind:     hidden_global_offset_x
      - .offset:         64
        .size:           8
        .value_kind:     hidden_global_offset_y
      - .offset:         72
        .size:           8
        .value_kind:     hidden_global_offset_z
      - .offset:         80
        .size:           2
        .value_kind:     hidden_grid_dims
    .group_segment_fixed_size: 8
    .kernarg_segment_align: 8
    .kernarg_segment_size: 272
    .language:       OpenCL C
    .language_version:
      - 2
      - 0
    .max_flat_workgroup_size: 256
    .name:           _Z6kernelI6reduceILN6hipcub20BlockReduceAlgorithmE0EEhLj256ELj1ELj100EEvPKT0_PS4_
    .private_segment_fixed_size: 0
    .sgpr_count:     18
    .sgpr_spill_count: 0
    .symbol:         _Z6kernelI6reduceILN6hipcub20BlockReduceAlgorithmE0EEhLj256ELj1ELj100EEvPKT0_PS4_.kd
    .uniform_work_group_size: 1
    .uses_dynamic_stack: false
    .vgpr_count:     10
    .vgpr_spill_count: 0
    .wavefront_size: 32
    .workgroup_processor_mode: 1
  - .args:
      - .address_space:  global
        .offset:         0
        .size:           8
        .value_kind:     global_buffer
      - .address_space:  global
        .offset:         8
        .size:           8
        .value_kind:     global_buffer
      - .offset:         16
        .size:           4
        .value_kind:     hidden_block_count_x
      - .offset:         20
        .size:           4
        .value_kind:     hidden_block_count_y
      - .offset:         24
        .size:           4
        .value_kind:     hidden_block_count_z
      - .offset:         28
        .size:           2
        .value_kind:     hidden_group_size_x
      - .offset:         30
        .size:           2
        .value_kind:     hidden_group_size_y
      - .offset:         32
        .size:           2
        .value_kind:     hidden_group_size_z
      - .offset:         34
        .size:           2
        .value_kind:     hidden_remainder_x
      - .offset:         36
        .size:           2
        .value_kind:     hidden_remainder_y
      - .offset:         38
        .size:           2
        .value_kind:     hidden_remainder_z
      - .offset:         56
        .size:           8
        .value_kind:     hidden_global_offset_x
      - .offset:         64
        .size:           8
        .value_kind:     hidden_global_offset_y
      - .offset:         72
        .size:           8
        .value_kind:     hidden_global_offset_z
      - .offset:         80
        .size:           2
        .value_kind:     hidden_grid_dims
    .group_segment_fixed_size: 8
    .kernarg_segment_align: 8
    .kernarg_segment_size: 272
    .language:       OpenCL C
    .language_version:
      - 2
      - 0
    .max_flat_workgroup_size: 256
    .name:           _Z6kernelI6reduceILN6hipcub20BlockReduceAlgorithmE0EEhLj256ELj2ELj100EEvPKT0_PS4_
    .private_segment_fixed_size: 0
    .sgpr_count:     18
    .sgpr_spill_count: 0
    .symbol:         _Z6kernelI6reduceILN6hipcub20BlockReduceAlgorithmE0EEhLj256ELj2ELj100EEvPKT0_PS4_.kd
    .uniform_work_group_size: 1
    .uses_dynamic_stack: false
    .vgpr_count:     10
    .vgpr_spill_count: 0
    .wavefront_size: 32
    .workgroup_processor_mode: 1
  - .args:
      - .address_space:  global
        .offset:         0
        .size:           8
        .value_kind:     global_buffer
      - .address_space:  global
        .offset:         8
        .size:           8
        .value_kind:     global_buffer
      - .offset:         16
        .size:           4
        .value_kind:     hidden_block_count_x
      - .offset:         20
        .size:           4
        .value_kind:     hidden_block_count_y
      - .offset:         24
        .size:           4
        .value_kind:     hidden_block_count_z
      - .offset:         28
        .size:           2
        .value_kind:     hidden_group_size_x
      - .offset:         30
        .size:           2
        .value_kind:     hidden_group_size_y
      - .offset:         32
        .size:           2
        .value_kind:     hidden_group_size_z
      - .offset:         34
        .size:           2
        .value_kind:     hidden_remainder_x
      - .offset:         36
        .size:           2
        .value_kind:     hidden_remainder_y
      - .offset:         38
        .size:           2
        .value_kind:     hidden_remainder_z
      - .offset:         56
        .size:           8
        .value_kind:     hidden_global_offset_x
      - .offset:         64
        .size:           8
        .value_kind:     hidden_global_offset_y
      - .offset:         72
        .size:           8
        .value_kind:     hidden_global_offset_z
      - .offset:         80
        .size:           2
        .value_kind:     hidden_grid_dims
    .group_segment_fixed_size: 8
    .kernarg_segment_align: 8
    .kernarg_segment_size: 272
    .language:       OpenCL C
    .language_version:
      - 2
      - 0
    .max_flat_workgroup_size: 256
    .name:           _Z6kernelI6reduceILN6hipcub20BlockReduceAlgorithmE0EEhLj256ELj3ELj100EEvPKT0_PS4_
    .private_segment_fixed_size: 0
    .sgpr_count:     18
    .sgpr_spill_count: 0
    .symbol:         _Z6kernelI6reduceILN6hipcub20BlockReduceAlgorithmE0EEhLj256ELj3ELj100EEvPKT0_PS4_.kd
    .uniform_work_group_size: 1
    .uses_dynamic_stack: false
    .vgpr_count:     11
    .vgpr_spill_count: 0
    .wavefront_size: 32
    .workgroup_processor_mode: 1
  - .args:
      - .address_space:  global
        .offset:         0
        .size:           8
        .value_kind:     global_buffer
      - .address_space:  global
        .offset:         8
        .size:           8
        .value_kind:     global_buffer
      - .offset:         16
        .size:           4
        .value_kind:     hidden_block_count_x
      - .offset:         20
        .size:           4
        .value_kind:     hidden_block_count_y
      - .offset:         24
        .size:           4
        .value_kind:     hidden_block_count_z
      - .offset:         28
        .size:           2
        .value_kind:     hidden_group_size_x
      - .offset:         30
        .size:           2
        .value_kind:     hidden_group_size_y
      - .offset:         32
        .size:           2
        .value_kind:     hidden_group_size_z
      - .offset:         34
        .size:           2
        .value_kind:     hidden_remainder_x
      - .offset:         36
        .size:           2
        .value_kind:     hidden_remainder_y
      - .offset:         38
        .size:           2
        .value_kind:     hidden_remainder_z
      - .offset:         56
        .size:           8
        .value_kind:     hidden_global_offset_x
      - .offset:         64
        .size:           8
        .value_kind:     hidden_global_offset_y
      - .offset:         72
        .size:           8
        .value_kind:     hidden_global_offset_z
      - .offset:         80
        .size:           2
        .value_kind:     hidden_grid_dims
    .group_segment_fixed_size: 8
    .kernarg_segment_align: 8
    .kernarg_segment_size: 272
    .language:       OpenCL C
    .language_version:
      - 2
      - 0
    .max_flat_workgroup_size: 256
    .name:           _Z6kernelI6reduceILN6hipcub20BlockReduceAlgorithmE0EEhLj256ELj4ELj100EEvPKT0_PS4_
    .private_segment_fixed_size: 0
    .sgpr_count:     18
    .sgpr_spill_count: 0
    .symbol:         _Z6kernelI6reduceILN6hipcub20BlockReduceAlgorithmE0EEhLj256ELj4ELj100EEvPKT0_PS4_.kd
    .uniform_work_group_size: 1
    .uses_dynamic_stack: false
    .vgpr_count:     10
    .vgpr_spill_count: 0
    .wavefront_size: 32
    .workgroup_processor_mode: 1
  - .args:
      - .address_space:  global
        .offset:         0
        .size:           8
        .value_kind:     global_buffer
      - .address_space:  global
        .offset:         8
        .size:           8
        .value_kind:     global_buffer
      - .offset:         16
        .size:           4
        .value_kind:     hidden_block_count_x
      - .offset:         20
        .size:           4
        .value_kind:     hidden_block_count_y
      - .offset:         24
        .size:           4
        .value_kind:     hidden_block_count_z
      - .offset:         28
        .size:           2
        .value_kind:     hidden_group_size_x
      - .offset:         30
        .size:           2
        .value_kind:     hidden_group_size_y
      - .offset:         32
        .size:           2
        .value_kind:     hidden_group_size_z
      - .offset:         34
        .size:           2
        .value_kind:     hidden_remainder_x
      - .offset:         36
        .size:           2
        .value_kind:     hidden_remainder_y
      - .offset:         38
        .size:           2
        .value_kind:     hidden_remainder_z
      - .offset:         56
        .size:           8
        .value_kind:     hidden_global_offset_x
      - .offset:         64
        .size:           8
        .value_kind:     hidden_global_offset_y
      - .offset:         72
        .size:           8
        .value_kind:     hidden_global_offset_z
      - .offset:         80
        .size:           2
        .value_kind:     hidden_grid_dims
    .group_segment_fixed_size: 8
    .kernarg_segment_align: 8
    .kernarg_segment_size: 272
    .language:       OpenCL C
    .language_version:
      - 2
      - 0
    .max_flat_workgroup_size: 256
    .name:           _Z6kernelI6reduceILN6hipcub20BlockReduceAlgorithmE0EEhLj256ELj8ELj100EEvPKT0_PS4_
    .private_segment_fixed_size: 0
    .sgpr_count:     18
    .sgpr_spill_count: 0
    .symbol:         _Z6kernelI6reduceILN6hipcub20BlockReduceAlgorithmE0EEhLj256ELj8ELj100EEvPKT0_PS4_.kd
    .uniform_work_group_size: 1
    .uses_dynamic_stack: false
    .vgpr_count:     12
    .vgpr_spill_count: 0
    .wavefront_size: 32
    .workgroup_processor_mode: 1
  - .args:
      - .address_space:  global
        .offset:         0
        .size:           8
        .value_kind:     global_buffer
      - .address_space:  global
        .offset:         8
        .size:           8
        .value_kind:     global_buffer
      - .offset:         16
        .size:           4
        .value_kind:     hidden_block_count_x
      - .offset:         20
        .size:           4
        .value_kind:     hidden_block_count_y
      - .offset:         24
        .size:           4
        .value_kind:     hidden_block_count_z
      - .offset:         28
        .size:           2
        .value_kind:     hidden_group_size_x
      - .offset:         30
        .size:           2
        .value_kind:     hidden_group_size_y
      - .offset:         32
        .size:           2
        .value_kind:     hidden_group_size_z
      - .offset:         34
        .size:           2
        .value_kind:     hidden_remainder_x
      - .offset:         36
        .size:           2
        .value_kind:     hidden_remainder_y
      - .offset:         38
        .size:           2
        .value_kind:     hidden_remainder_z
      - .offset:         56
        .size:           8
        .value_kind:     hidden_global_offset_x
      - .offset:         64
        .size:           8
        .value_kind:     hidden_global_offset_y
      - .offset:         72
        .size:           8
        .value_kind:     hidden_global_offset_z
      - .offset:         80
        .size:           2
        .value_kind:     hidden_grid_dims
    .group_segment_fixed_size: 8
    .kernarg_segment_align: 8
    .kernarg_segment_size: 272
    .language:       OpenCL C
    .language_version:
      - 2
      - 0
    .max_flat_workgroup_size: 256
    .name:           _Z6kernelI6reduceILN6hipcub20BlockReduceAlgorithmE0EEhLj256ELj11ELj100EEvPKT0_PS4_
    .private_segment_fixed_size: 0
    .sgpr_count:     18
    .sgpr_spill_count: 0
    .symbol:         _Z6kernelI6reduceILN6hipcub20BlockReduceAlgorithmE0EEhLj256ELj11ELj100EEvPKT0_PS4_.kd
    .uniform_work_group_size: 1
    .uses_dynamic_stack: false
    .vgpr_count:     19
    .vgpr_spill_count: 0
    .wavefront_size: 32
    .workgroup_processor_mode: 1
  - .args:
      - .address_space:  global
        .offset:         0
        .size:           8
        .value_kind:     global_buffer
      - .address_space:  global
        .offset:         8
        .size:           8
        .value_kind:     global_buffer
      - .offset:         16
        .size:           4
        .value_kind:     hidden_block_count_x
      - .offset:         20
        .size:           4
        .value_kind:     hidden_block_count_y
      - .offset:         24
        .size:           4
        .value_kind:     hidden_block_count_z
      - .offset:         28
        .size:           2
        .value_kind:     hidden_group_size_x
      - .offset:         30
        .size:           2
        .value_kind:     hidden_group_size_y
      - .offset:         32
        .size:           2
        .value_kind:     hidden_group_size_z
      - .offset:         34
        .size:           2
        .value_kind:     hidden_remainder_x
      - .offset:         36
        .size:           2
        .value_kind:     hidden_remainder_y
      - .offset:         38
        .size:           2
        .value_kind:     hidden_remainder_z
      - .offset:         56
        .size:           8
        .value_kind:     hidden_global_offset_x
      - .offset:         64
        .size:           8
        .value_kind:     hidden_global_offset_y
      - .offset:         72
        .size:           8
        .value_kind:     hidden_global_offset_z
      - .offset:         80
        .size:           2
        .value_kind:     hidden_grid_dims
    .group_segment_fixed_size: 8
    .kernarg_segment_align: 8
    .kernarg_segment_size: 272
    .language:       OpenCL C
    .language_version:
      - 2
      - 0
    .max_flat_workgroup_size: 256
    .name:           _Z6kernelI6reduceILN6hipcub20BlockReduceAlgorithmE0EEhLj256ELj16ELj100EEvPKT0_PS4_
    .private_segment_fixed_size: 0
    .sgpr_count:     18
    .sgpr_spill_count: 0
    .symbol:         _Z6kernelI6reduceILN6hipcub20BlockReduceAlgorithmE0EEhLj256ELj16ELj100EEvPKT0_PS4_.kd
    .uniform_work_group_size: 1
    .uses_dynamic_stack: false
    .vgpr_count:     14
    .vgpr_spill_count: 0
    .wavefront_size: 32
    .workgroup_processor_mode: 1
  - .args:
      - .address_space:  global
        .offset:         0
        .size:           8
        .value_kind:     global_buffer
      - .address_space:  global
        .offset:         8
        .size:           8
        .value_kind:     global_buffer
      - .offset:         16
        .size:           4
        .value_kind:     hidden_block_count_x
      - .offset:         20
        .size:           4
        .value_kind:     hidden_block_count_y
      - .offset:         24
        .size:           4
        .value_kind:     hidden_block_count_z
      - .offset:         28
        .size:           2
        .value_kind:     hidden_group_size_x
      - .offset:         30
        .size:           2
        .value_kind:     hidden_group_size_y
      - .offset:         32
        .size:           2
        .value_kind:     hidden_group_size_z
      - .offset:         34
        .size:           2
        .value_kind:     hidden_remainder_x
      - .offset:         36
        .size:           2
        .value_kind:     hidden_remainder_y
      - .offset:         38
        .size:           2
        .value_kind:     hidden_remainder_z
      - .offset:         56
        .size:           8
        .value_kind:     hidden_global_offset_x
      - .offset:         64
        .size:           8
        .value_kind:     hidden_global_offset_y
      - .offset:         72
        .size:           8
        .value_kind:     hidden_global_offset_z
      - .offset:         80
        .size:           2
        .value_kind:     hidden_grid_dims
    .group_segment_fixed_size: 256
    .kernarg_segment_align: 8
    .kernarg_segment_size: 272
    .language:       OpenCL C
    .language_version:
      - 2
      - 0
    .max_flat_workgroup_size: 64
    .name:           _Z6kernelI6reduceILN6hipcub20BlockReduceAlgorithmE1EEiLj64ELj1ELj100EEvPKT0_PS4_
    .private_segment_fixed_size: 0
    .sgpr_count:     18
    .sgpr_spill_count: 0
    .symbol:         _Z6kernelI6reduceILN6hipcub20BlockReduceAlgorithmE1EEiLj64ELj1ELj100EEvPKT0_PS4_.kd
    .uniform_work_group_size: 1
    .uses_dynamic_stack: false
    .vgpr_count:     7
    .vgpr_spill_count: 0
    .wavefront_size: 32
    .workgroup_processor_mode: 1
  - .args:
      - .address_space:  global
        .offset:         0
        .size:           8
        .value_kind:     global_buffer
      - .address_space:  global
        .offset:         8
        .size:           8
        .value_kind:     global_buffer
      - .offset:         16
        .size:           4
        .value_kind:     hidden_block_count_x
      - .offset:         20
        .size:           4
        .value_kind:     hidden_block_count_y
      - .offset:         24
        .size:           4
        .value_kind:     hidden_block_count_z
      - .offset:         28
        .size:           2
        .value_kind:     hidden_group_size_x
      - .offset:         30
        .size:           2
        .value_kind:     hidden_group_size_y
      - .offset:         32
        .size:           2
        .value_kind:     hidden_group_size_z
      - .offset:         34
        .size:           2
        .value_kind:     hidden_remainder_x
      - .offset:         36
        .size:           2
        .value_kind:     hidden_remainder_y
      - .offset:         38
        .size:           2
        .value_kind:     hidden_remainder_z
      - .offset:         56
        .size:           8
        .value_kind:     hidden_global_offset_x
      - .offset:         64
        .size:           8
        .value_kind:     hidden_global_offset_y
      - .offset:         72
        .size:           8
        .value_kind:     hidden_global_offset_z
      - .offset:         80
        .size:           2
        .value_kind:     hidden_grid_dims
    .group_segment_fixed_size: 256
    .kernarg_segment_align: 8
    .kernarg_segment_size: 272
    .language:       OpenCL C
    .language_version:
      - 2
      - 0
    .max_flat_workgroup_size: 64
    .name:           _Z6kernelI6reduceILN6hipcub20BlockReduceAlgorithmE1EEiLj64ELj2ELj100EEvPKT0_PS4_
    .private_segment_fixed_size: 0
    .sgpr_count:     18
    .sgpr_spill_count: 0
    .symbol:         _Z6kernelI6reduceILN6hipcub20BlockReduceAlgorithmE1EEiLj64ELj2ELj100EEvPKT0_PS4_.kd
    .uniform_work_group_size: 1
    .uses_dynamic_stack: false
    .vgpr_count:     8
    .vgpr_spill_count: 0
    .wavefront_size: 32
    .workgroup_processor_mode: 1
  - .args:
      - .address_space:  global
        .offset:         0
        .size:           8
        .value_kind:     global_buffer
      - .address_space:  global
        .offset:         8
        .size:           8
        .value_kind:     global_buffer
      - .offset:         16
        .size:           4
        .value_kind:     hidden_block_count_x
      - .offset:         20
        .size:           4
        .value_kind:     hidden_block_count_y
      - .offset:         24
        .size:           4
        .value_kind:     hidden_block_count_z
      - .offset:         28
        .size:           2
        .value_kind:     hidden_group_size_x
      - .offset:         30
        .size:           2
        .value_kind:     hidden_group_size_y
      - .offset:         32
        .size:           2
        .value_kind:     hidden_group_size_z
      - .offset:         34
        .size:           2
        .value_kind:     hidden_remainder_x
      - .offset:         36
        .size:           2
        .value_kind:     hidden_remainder_y
      - .offset:         38
        .size:           2
        .value_kind:     hidden_remainder_z
      - .offset:         56
        .size:           8
        .value_kind:     hidden_global_offset_x
      - .offset:         64
        .size:           8
        .value_kind:     hidden_global_offset_y
      - .offset:         72
        .size:           8
        .value_kind:     hidden_global_offset_z
      - .offset:         80
        .size:           2
        .value_kind:     hidden_grid_dims
    .group_segment_fixed_size: 256
    .kernarg_segment_align: 8
    .kernarg_segment_size: 272
    .language:       OpenCL C
    .language_version:
      - 2
      - 0
    .max_flat_workgroup_size: 64
    .name:           _Z6kernelI6reduceILN6hipcub20BlockReduceAlgorithmE1EEiLj64ELj3ELj100EEvPKT0_PS4_
    .private_segment_fixed_size: 0
    .sgpr_count:     18
    .sgpr_spill_count: 0
    .symbol:         _Z6kernelI6reduceILN6hipcub20BlockReduceAlgorithmE1EEiLj64ELj3ELj100EEvPKT0_PS4_.kd
    .uniform_work_group_size: 1
    .uses_dynamic_stack: false
    .vgpr_count:     9
    .vgpr_spill_count: 0
    .wavefront_size: 32
    .workgroup_processor_mode: 1
  - .args:
      - .address_space:  global
        .offset:         0
        .size:           8
        .value_kind:     global_buffer
      - .address_space:  global
        .offset:         8
        .size:           8
        .value_kind:     global_buffer
      - .offset:         16
        .size:           4
        .value_kind:     hidden_block_count_x
      - .offset:         20
        .size:           4
        .value_kind:     hidden_block_count_y
      - .offset:         24
        .size:           4
        .value_kind:     hidden_block_count_z
      - .offset:         28
        .size:           2
        .value_kind:     hidden_group_size_x
      - .offset:         30
        .size:           2
        .value_kind:     hidden_group_size_y
      - .offset:         32
        .size:           2
        .value_kind:     hidden_group_size_z
      - .offset:         34
        .size:           2
        .value_kind:     hidden_remainder_x
      - .offset:         36
        .size:           2
        .value_kind:     hidden_remainder_y
      - .offset:         38
        .size:           2
        .value_kind:     hidden_remainder_z
      - .offset:         56
        .size:           8
        .value_kind:     hidden_global_offset_x
      - .offset:         64
        .size:           8
        .value_kind:     hidden_global_offset_y
      - .offset:         72
        .size:           8
        .value_kind:     hidden_global_offset_z
      - .offset:         80
        .size:           2
        .value_kind:     hidden_grid_dims
    .group_segment_fixed_size: 256
    .kernarg_segment_align: 8
    .kernarg_segment_size: 272
    .language:       OpenCL C
    .language_version:
      - 2
      - 0
    .max_flat_workgroup_size: 64
    .name:           _Z6kernelI6reduceILN6hipcub20BlockReduceAlgorithmE1EEiLj64ELj4ELj100EEvPKT0_PS4_
    .private_segment_fixed_size: 0
    .sgpr_count:     18
    .sgpr_spill_count: 0
    .symbol:         _Z6kernelI6reduceILN6hipcub20BlockReduceAlgorithmE1EEiLj64ELj4ELj100EEvPKT0_PS4_.kd
    .uniform_work_group_size: 1
    .uses_dynamic_stack: false
    .vgpr_count:     10
    .vgpr_spill_count: 0
    .wavefront_size: 32
    .workgroup_processor_mode: 1
  - .args:
      - .address_space:  global
        .offset:         0
        .size:           8
        .value_kind:     global_buffer
      - .address_space:  global
        .offset:         8
        .size:           8
        .value_kind:     global_buffer
      - .offset:         16
        .size:           4
        .value_kind:     hidden_block_count_x
      - .offset:         20
        .size:           4
        .value_kind:     hidden_block_count_y
      - .offset:         24
        .size:           4
        .value_kind:     hidden_block_count_z
      - .offset:         28
        .size:           2
        .value_kind:     hidden_group_size_x
      - .offset:         30
        .size:           2
        .value_kind:     hidden_group_size_y
      - .offset:         32
        .size:           2
        .value_kind:     hidden_group_size_z
      - .offset:         34
        .size:           2
        .value_kind:     hidden_remainder_x
      - .offset:         36
        .size:           2
        .value_kind:     hidden_remainder_y
      - .offset:         38
        .size:           2
        .value_kind:     hidden_remainder_z
      - .offset:         56
        .size:           8
        .value_kind:     hidden_global_offset_x
      - .offset:         64
        .size:           8
        .value_kind:     hidden_global_offset_y
      - .offset:         72
        .size:           8
        .value_kind:     hidden_global_offset_z
      - .offset:         80
        .size:           2
        .value_kind:     hidden_grid_dims
    .group_segment_fixed_size: 256
    .kernarg_segment_align: 8
    .kernarg_segment_size: 272
    .language:       OpenCL C
    .language_version:
      - 2
      - 0
    .max_flat_workgroup_size: 64
    .name:           _Z6kernelI6reduceILN6hipcub20BlockReduceAlgorithmE1EEiLj64ELj8ELj100EEvPKT0_PS4_
    .private_segment_fixed_size: 0
    .sgpr_count:     18
    .sgpr_spill_count: 0
    .symbol:         _Z6kernelI6reduceILN6hipcub20BlockReduceAlgorithmE1EEiLj64ELj8ELj100EEvPKT0_PS4_.kd
    .uniform_work_group_size: 1
    .uses_dynamic_stack: false
    .vgpr_count:     14
    .vgpr_spill_count: 0
    .wavefront_size: 32
    .workgroup_processor_mode: 1
  - .args:
      - .address_space:  global
        .offset:         0
        .size:           8
        .value_kind:     global_buffer
      - .address_space:  global
        .offset:         8
        .size:           8
        .value_kind:     global_buffer
      - .offset:         16
        .size:           4
        .value_kind:     hidden_block_count_x
      - .offset:         20
        .size:           4
        .value_kind:     hidden_block_count_y
      - .offset:         24
        .size:           4
        .value_kind:     hidden_block_count_z
      - .offset:         28
        .size:           2
        .value_kind:     hidden_group_size_x
      - .offset:         30
        .size:           2
        .value_kind:     hidden_group_size_y
      - .offset:         32
        .size:           2
        .value_kind:     hidden_group_size_z
      - .offset:         34
        .size:           2
        .value_kind:     hidden_remainder_x
      - .offset:         36
        .size:           2
        .value_kind:     hidden_remainder_y
      - .offset:         38
        .size:           2
        .value_kind:     hidden_remainder_z
      - .offset:         56
        .size:           8
        .value_kind:     hidden_global_offset_x
      - .offset:         64
        .size:           8
        .value_kind:     hidden_global_offset_y
      - .offset:         72
        .size:           8
        .value_kind:     hidden_global_offset_z
      - .offset:         80
        .size:           2
        .value_kind:     hidden_grid_dims
    .group_segment_fixed_size: 256
    .kernarg_segment_align: 8
    .kernarg_segment_size: 272
    .language:       OpenCL C
    .language_version:
      - 2
      - 0
    .max_flat_workgroup_size: 64
    .name:           _Z6kernelI6reduceILN6hipcub20BlockReduceAlgorithmE1EEiLj64ELj11ELj100EEvPKT0_PS4_
    .private_segment_fixed_size: 0
    .sgpr_count:     18
    .sgpr_spill_count: 0
    .symbol:         _Z6kernelI6reduceILN6hipcub20BlockReduceAlgorithmE1EEiLj64ELj11ELj100EEvPKT0_PS4_.kd
    .uniform_work_group_size: 1
    .uses_dynamic_stack: false
    .vgpr_count:     24
    .vgpr_spill_count: 0
    .wavefront_size: 32
    .workgroup_processor_mode: 1
  - .args:
      - .address_space:  global
        .offset:         0
        .size:           8
        .value_kind:     global_buffer
      - .address_space:  global
        .offset:         8
        .size:           8
        .value_kind:     global_buffer
      - .offset:         16
        .size:           4
        .value_kind:     hidden_block_count_x
      - .offset:         20
        .size:           4
        .value_kind:     hidden_block_count_y
      - .offset:         24
        .size:           4
        .value_kind:     hidden_block_count_z
      - .offset:         28
        .size:           2
        .value_kind:     hidden_group_size_x
      - .offset:         30
        .size:           2
        .value_kind:     hidden_group_size_y
      - .offset:         32
        .size:           2
        .value_kind:     hidden_group_size_z
      - .offset:         34
        .size:           2
        .value_kind:     hidden_remainder_x
      - .offset:         36
        .size:           2
        .value_kind:     hidden_remainder_y
      - .offset:         38
        .size:           2
        .value_kind:     hidden_remainder_z
      - .offset:         56
        .size:           8
        .value_kind:     hidden_global_offset_x
      - .offset:         64
        .size:           8
        .value_kind:     hidden_global_offset_y
      - .offset:         72
        .size:           8
        .value_kind:     hidden_global_offset_z
      - .offset:         80
        .size:           2
        .value_kind:     hidden_grid_dims
    .group_segment_fixed_size: 256
    .kernarg_segment_align: 8
    .kernarg_segment_size: 272
    .language:       OpenCL C
    .language_version:
      - 2
      - 0
    .max_flat_workgroup_size: 64
    .name:           _Z6kernelI6reduceILN6hipcub20BlockReduceAlgorithmE1EEiLj64ELj16ELj100EEvPKT0_PS4_
    .private_segment_fixed_size: 0
    .sgpr_count:     18
    .sgpr_spill_count: 0
    .symbol:         _Z6kernelI6reduceILN6hipcub20BlockReduceAlgorithmE1EEiLj64ELj16ELj100EEvPKT0_PS4_.kd
    .uniform_work_group_size: 1
    .uses_dynamic_stack: false
    .vgpr_count:     17
    .vgpr_spill_count: 0
    .wavefront_size: 32
    .workgroup_processor_mode: 1
  - .args:
      - .address_space:  global
        .offset:         0
        .size:           8
        .value_kind:     global_buffer
      - .address_space:  global
        .offset:         8
        .size:           8
        .value_kind:     global_buffer
      - .offset:         16
        .size:           4
        .value_kind:     hidden_block_count_x
      - .offset:         20
        .size:           4
        .value_kind:     hidden_block_count_y
      - .offset:         24
        .size:           4
        .value_kind:     hidden_block_count_z
      - .offset:         28
        .size:           2
        .value_kind:     hidden_group_size_x
      - .offset:         30
        .size:           2
        .value_kind:     hidden_group_size_y
      - .offset:         32
        .size:           2
        .value_kind:     hidden_group_size_z
      - .offset:         34
        .size:           2
        .value_kind:     hidden_remainder_x
      - .offset:         36
        .size:           2
        .value_kind:     hidden_remainder_y
      - .offset:         38
        .size:           2
        .value_kind:     hidden_remainder_z
      - .offset:         56
        .size:           8
        .value_kind:     hidden_global_offset_x
      - .offset:         64
        .size:           8
        .value_kind:     hidden_global_offset_y
      - .offset:         72
        .size:           8
        .value_kind:     hidden_global_offset_z
      - .offset:         80
        .size:           2
        .value_kind:     hidden_grid_dims
    .group_segment_fixed_size: 256
    .kernarg_segment_align: 8
    .kernarg_segment_size: 272
    .language:       OpenCL C
    .language_version:
      - 2
      - 0
    .max_flat_workgroup_size: 64
    .name:           _Z6kernelI6reduceILN6hipcub20BlockReduceAlgorithmE1EEfLj64ELj1ELj100EEvPKT0_PS4_
    .private_segment_fixed_size: 0
    .sgpr_count:     18
    .sgpr_spill_count: 0
    .symbol:         _Z6kernelI6reduceILN6hipcub20BlockReduceAlgorithmE1EEfLj64ELj1ELj100EEvPKT0_PS4_.kd
    .uniform_work_group_size: 1
    .uses_dynamic_stack: false
    .vgpr_count:     7
    .vgpr_spill_count: 0
    .wavefront_size: 32
    .workgroup_processor_mode: 1
  - .args:
      - .address_space:  global
        .offset:         0
        .size:           8
        .value_kind:     global_buffer
      - .address_space:  global
        .offset:         8
        .size:           8
        .value_kind:     global_buffer
      - .offset:         16
        .size:           4
        .value_kind:     hidden_block_count_x
      - .offset:         20
        .size:           4
        .value_kind:     hidden_block_count_y
      - .offset:         24
        .size:           4
        .value_kind:     hidden_block_count_z
      - .offset:         28
        .size:           2
        .value_kind:     hidden_group_size_x
      - .offset:         30
        .size:           2
        .value_kind:     hidden_group_size_y
      - .offset:         32
        .size:           2
        .value_kind:     hidden_group_size_z
      - .offset:         34
        .size:           2
        .value_kind:     hidden_remainder_x
      - .offset:         36
        .size:           2
        .value_kind:     hidden_remainder_y
      - .offset:         38
        .size:           2
        .value_kind:     hidden_remainder_z
      - .offset:         56
        .size:           8
        .value_kind:     hidden_global_offset_x
      - .offset:         64
        .size:           8
        .value_kind:     hidden_global_offset_y
      - .offset:         72
        .size:           8
        .value_kind:     hidden_global_offset_z
      - .offset:         80
        .size:           2
        .value_kind:     hidden_grid_dims
    .group_segment_fixed_size: 256
    .kernarg_segment_align: 8
    .kernarg_segment_size: 272
    .language:       OpenCL C
    .language_version:
      - 2
      - 0
    .max_flat_workgroup_size: 64
    .name:           _Z6kernelI6reduceILN6hipcub20BlockReduceAlgorithmE1EEfLj64ELj2ELj100EEvPKT0_PS4_
    .private_segment_fixed_size: 0
    .sgpr_count:     18
    .sgpr_spill_count: 0
    .symbol:         _Z6kernelI6reduceILN6hipcub20BlockReduceAlgorithmE1EEfLj64ELj2ELj100EEvPKT0_PS4_.kd
    .uniform_work_group_size: 1
    .uses_dynamic_stack: false
    .vgpr_count:     8
    .vgpr_spill_count: 0
    .wavefront_size: 32
    .workgroup_processor_mode: 1
  - .args:
      - .address_space:  global
        .offset:         0
        .size:           8
        .value_kind:     global_buffer
      - .address_space:  global
        .offset:         8
        .size:           8
        .value_kind:     global_buffer
      - .offset:         16
        .size:           4
        .value_kind:     hidden_block_count_x
      - .offset:         20
        .size:           4
        .value_kind:     hidden_block_count_y
      - .offset:         24
        .size:           4
        .value_kind:     hidden_block_count_z
      - .offset:         28
        .size:           2
        .value_kind:     hidden_group_size_x
      - .offset:         30
        .size:           2
        .value_kind:     hidden_group_size_y
      - .offset:         32
        .size:           2
        .value_kind:     hidden_group_size_z
      - .offset:         34
        .size:           2
        .value_kind:     hidden_remainder_x
      - .offset:         36
        .size:           2
        .value_kind:     hidden_remainder_y
      - .offset:         38
        .size:           2
        .value_kind:     hidden_remainder_z
      - .offset:         56
        .size:           8
        .value_kind:     hidden_global_offset_x
      - .offset:         64
        .size:           8
        .value_kind:     hidden_global_offset_y
      - .offset:         72
        .size:           8
        .value_kind:     hidden_global_offset_z
      - .offset:         80
        .size:           2
        .value_kind:     hidden_grid_dims
    .group_segment_fixed_size: 256
    .kernarg_segment_align: 8
    .kernarg_segment_size: 272
    .language:       OpenCL C
    .language_version:
      - 2
      - 0
    .max_flat_workgroup_size: 64
    .name:           _Z6kernelI6reduceILN6hipcub20BlockReduceAlgorithmE1EEfLj64ELj3ELj100EEvPKT0_PS4_
    .private_segment_fixed_size: 0
    .sgpr_count:     18
    .sgpr_spill_count: 0
    .symbol:         _Z6kernelI6reduceILN6hipcub20BlockReduceAlgorithmE1EEfLj64ELj3ELj100EEvPKT0_PS4_.kd
    .uniform_work_group_size: 1
    .uses_dynamic_stack: false
    .vgpr_count:     9
    .vgpr_spill_count: 0
    .wavefront_size: 32
    .workgroup_processor_mode: 1
  - .args:
      - .address_space:  global
        .offset:         0
        .size:           8
        .value_kind:     global_buffer
      - .address_space:  global
        .offset:         8
        .size:           8
        .value_kind:     global_buffer
      - .offset:         16
        .size:           4
        .value_kind:     hidden_block_count_x
      - .offset:         20
        .size:           4
        .value_kind:     hidden_block_count_y
      - .offset:         24
        .size:           4
        .value_kind:     hidden_block_count_z
      - .offset:         28
        .size:           2
        .value_kind:     hidden_group_size_x
      - .offset:         30
        .size:           2
        .value_kind:     hidden_group_size_y
      - .offset:         32
        .size:           2
        .value_kind:     hidden_group_size_z
      - .offset:         34
        .size:           2
        .value_kind:     hidden_remainder_x
      - .offset:         36
        .size:           2
        .value_kind:     hidden_remainder_y
      - .offset:         38
        .size:           2
        .value_kind:     hidden_remainder_z
      - .offset:         56
        .size:           8
        .value_kind:     hidden_global_offset_x
      - .offset:         64
        .size:           8
        .value_kind:     hidden_global_offset_y
      - .offset:         72
        .size:           8
        .value_kind:     hidden_global_offset_z
      - .offset:         80
        .size:           2
        .value_kind:     hidden_grid_dims
    .group_segment_fixed_size: 256
    .kernarg_segment_align: 8
    .kernarg_segment_size: 272
    .language:       OpenCL C
    .language_version:
      - 2
      - 0
    .max_flat_workgroup_size: 64
    .name:           _Z6kernelI6reduceILN6hipcub20BlockReduceAlgorithmE1EEfLj64ELj4ELj100EEvPKT0_PS4_
    .private_segment_fixed_size: 0
    .sgpr_count:     18
    .sgpr_spill_count: 0
    .symbol:         _Z6kernelI6reduceILN6hipcub20BlockReduceAlgorithmE1EEfLj64ELj4ELj100EEvPKT0_PS4_.kd
    .uniform_work_group_size: 1
    .uses_dynamic_stack: false
    .vgpr_count:     10
    .vgpr_spill_count: 0
    .wavefront_size: 32
    .workgroup_processor_mode: 1
  - .args:
      - .address_space:  global
        .offset:         0
        .size:           8
        .value_kind:     global_buffer
      - .address_space:  global
        .offset:         8
        .size:           8
        .value_kind:     global_buffer
      - .offset:         16
        .size:           4
        .value_kind:     hidden_block_count_x
      - .offset:         20
        .size:           4
        .value_kind:     hidden_block_count_y
      - .offset:         24
        .size:           4
        .value_kind:     hidden_block_count_z
      - .offset:         28
        .size:           2
        .value_kind:     hidden_group_size_x
      - .offset:         30
        .size:           2
        .value_kind:     hidden_group_size_y
      - .offset:         32
        .size:           2
        .value_kind:     hidden_group_size_z
      - .offset:         34
        .size:           2
        .value_kind:     hidden_remainder_x
      - .offset:         36
        .size:           2
        .value_kind:     hidden_remainder_y
      - .offset:         38
        .size:           2
        .value_kind:     hidden_remainder_z
      - .offset:         56
        .size:           8
        .value_kind:     hidden_global_offset_x
      - .offset:         64
        .size:           8
        .value_kind:     hidden_global_offset_y
      - .offset:         72
        .size:           8
        .value_kind:     hidden_global_offset_z
      - .offset:         80
        .size:           2
        .value_kind:     hidden_grid_dims
    .group_segment_fixed_size: 256
    .kernarg_segment_align: 8
    .kernarg_segment_size: 272
    .language:       OpenCL C
    .language_version:
      - 2
      - 0
    .max_flat_workgroup_size: 64
    .name:           _Z6kernelI6reduceILN6hipcub20BlockReduceAlgorithmE1EEfLj64ELj8ELj100EEvPKT0_PS4_
    .private_segment_fixed_size: 0
    .sgpr_count:     18
    .sgpr_spill_count: 0
    .symbol:         _Z6kernelI6reduceILN6hipcub20BlockReduceAlgorithmE1EEfLj64ELj8ELj100EEvPKT0_PS4_.kd
    .uniform_work_group_size: 1
    .uses_dynamic_stack: false
    .vgpr_count:     14
    .vgpr_spill_count: 0
    .wavefront_size: 32
    .workgroup_processor_mode: 1
  - .args:
      - .address_space:  global
        .offset:         0
        .size:           8
        .value_kind:     global_buffer
      - .address_space:  global
        .offset:         8
        .size:           8
        .value_kind:     global_buffer
      - .offset:         16
        .size:           4
        .value_kind:     hidden_block_count_x
      - .offset:         20
        .size:           4
        .value_kind:     hidden_block_count_y
      - .offset:         24
        .size:           4
        .value_kind:     hidden_block_count_z
      - .offset:         28
        .size:           2
        .value_kind:     hidden_group_size_x
      - .offset:         30
        .size:           2
        .value_kind:     hidden_group_size_y
      - .offset:         32
        .size:           2
        .value_kind:     hidden_group_size_z
      - .offset:         34
        .size:           2
        .value_kind:     hidden_remainder_x
      - .offset:         36
        .size:           2
        .value_kind:     hidden_remainder_y
      - .offset:         38
        .size:           2
        .value_kind:     hidden_remainder_z
      - .offset:         56
        .size:           8
        .value_kind:     hidden_global_offset_x
      - .offset:         64
        .size:           8
        .value_kind:     hidden_global_offset_y
      - .offset:         72
        .size:           8
        .value_kind:     hidden_global_offset_z
      - .offset:         80
        .size:           2
        .value_kind:     hidden_grid_dims
    .group_segment_fixed_size: 256
    .kernarg_segment_align: 8
    .kernarg_segment_size: 272
    .language:       OpenCL C
    .language_version:
      - 2
      - 0
    .max_flat_workgroup_size: 64
    .name:           _Z6kernelI6reduceILN6hipcub20BlockReduceAlgorithmE1EEfLj64ELj11ELj100EEvPKT0_PS4_
    .private_segment_fixed_size: 0
    .sgpr_count:     18
    .sgpr_spill_count: 0
    .symbol:         _Z6kernelI6reduceILN6hipcub20BlockReduceAlgorithmE1EEfLj64ELj11ELj100EEvPKT0_PS4_.kd
    .uniform_work_group_size: 1
    .uses_dynamic_stack: false
    .vgpr_count:     27
    .vgpr_spill_count: 0
    .wavefront_size: 32
    .workgroup_processor_mode: 1
  - .args:
      - .address_space:  global
        .offset:         0
        .size:           8
        .value_kind:     global_buffer
      - .address_space:  global
        .offset:         8
        .size:           8
        .value_kind:     global_buffer
      - .offset:         16
        .size:           4
        .value_kind:     hidden_block_count_x
      - .offset:         20
        .size:           4
        .value_kind:     hidden_block_count_y
      - .offset:         24
        .size:           4
        .value_kind:     hidden_block_count_z
      - .offset:         28
        .size:           2
        .value_kind:     hidden_group_size_x
      - .offset:         30
        .size:           2
        .value_kind:     hidden_group_size_y
      - .offset:         32
        .size:           2
        .value_kind:     hidden_group_size_z
      - .offset:         34
        .size:           2
        .value_kind:     hidden_remainder_x
      - .offset:         36
        .size:           2
        .value_kind:     hidden_remainder_y
      - .offset:         38
        .size:           2
        .value_kind:     hidden_remainder_z
      - .offset:         56
        .size:           8
        .value_kind:     hidden_global_offset_x
      - .offset:         64
        .size:           8
        .value_kind:     hidden_global_offset_y
      - .offset:         72
        .size:           8
        .value_kind:     hidden_global_offset_z
      - .offset:         80
        .size:           2
        .value_kind:     hidden_grid_dims
    .group_segment_fixed_size: 256
    .kernarg_segment_align: 8
    .kernarg_segment_size: 272
    .language:       OpenCL C
    .language_version:
      - 2
      - 0
    .max_flat_workgroup_size: 64
    .name:           _Z6kernelI6reduceILN6hipcub20BlockReduceAlgorithmE1EEfLj64ELj16ELj100EEvPKT0_PS4_
    .private_segment_fixed_size: 0
    .sgpr_count:     18
    .sgpr_spill_count: 0
    .symbol:         _Z6kernelI6reduceILN6hipcub20BlockReduceAlgorithmE1EEfLj64ELj16ELj100EEvPKT0_PS4_.kd
    .uniform_work_group_size: 1
    .uses_dynamic_stack: false
    .vgpr_count:     22
    .vgpr_spill_count: 0
    .wavefront_size: 32
    .workgroup_processor_mode: 1
  - .args:
      - .address_space:  global
        .offset:         0
        .size:           8
        .value_kind:     global_buffer
      - .address_space:  global
        .offset:         8
        .size:           8
        .value_kind:     global_buffer
      - .offset:         16
        .size:           4
        .value_kind:     hidden_block_count_x
      - .offset:         20
        .size:           4
        .value_kind:     hidden_block_count_y
      - .offset:         24
        .size:           4
        .value_kind:     hidden_block_count_z
      - .offset:         28
        .size:           2
        .value_kind:     hidden_group_size_x
      - .offset:         30
        .size:           2
        .value_kind:     hidden_group_size_y
      - .offset:         32
        .size:           2
        .value_kind:     hidden_group_size_z
      - .offset:         34
        .size:           2
        .value_kind:     hidden_remainder_x
      - .offset:         36
        .size:           2
        .value_kind:     hidden_remainder_y
      - .offset:         38
        .size:           2
        .value_kind:     hidden_remainder_z
      - .offset:         56
        .size:           8
        .value_kind:     hidden_global_offset_x
      - .offset:         64
        .size:           8
        .value_kind:     hidden_global_offset_y
      - .offset:         72
        .size:           8
        .value_kind:     hidden_global_offset_z
      - .offset:         80
        .size:           2
        .value_kind:     hidden_grid_dims
    .group_segment_fixed_size: 512
    .kernarg_segment_align: 8
    .kernarg_segment_size: 272
    .language:       OpenCL C
    .language_version:
      - 2
      - 0
    .max_flat_workgroup_size: 64
    .name:           _Z6kernelI6reduceILN6hipcub20BlockReduceAlgorithmE1EEdLj64ELj1ELj100EEvPKT0_PS4_
    .private_segment_fixed_size: 0
    .sgpr_count:     18
    .sgpr_spill_count: 0
    .symbol:         _Z6kernelI6reduceILN6hipcub20BlockReduceAlgorithmE1EEdLj64ELj1ELj100EEvPKT0_PS4_.kd
    .uniform_work_group_size: 1
    .uses_dynamic_stack: false
    .vgpr_count:     10
    .vgpr_spill_count: 0
    .wavefront_size: 32
    .workgroup_processor_mode: 1
  - .args:
      - .address_space:  global
        .offset:         0
        .size:           8
        .value_kind:     global_buffer
      - .address_space:  global
        .offset:         8
        .size:           8
        .value_kind:     global_buffer
      - .offset:         16
        .size:           4
        .value_kind:     hidden_block_count_x
      - .offset:         20
        .size:           4
        .value_kind:     hidden_block_count_y
      - .offset:         24
        .size:           4
        .value_kind:     hidden_block_count_z
      - .offset:         28
        .size:           2
        .value_kind:     hidden_group_size_x
      - .offset:         30
        .size:           2
        .value_kind:     hidden_group_size_y
      - .offset:         32
        .size:           2
        .value_kind:     hidden_group_size_z
      - .offset:         34
        .size:           2
        .value_kind:     hidden_remainder_x
      - .offset:         36
        .size:           2
        .value_kind:     hidden_remainder_y
      - .offset:         38
        .size:           2
        .value_kind:     hidden_remainder_z
      - .offset:         56
        .size:           8
        .value_kind:     hidden_global_offset_x
      - .offset:         64
        .size:           8
        .value_kind:     hidden_global_offset_y
      - .offset:         72
        .size:           8
        .value_kind:     hidden_global_offset_z
      - .offset:         80
        .size:           2
        .value_kind:     hidden_grid_dims
    .group_segment_fixed_size: 512
    .kernarg_segment_align: 8
    .kernarg_segment_size: 272
    .language:       OpenCL C
    .language_version:
      - 2
      - 0
    .max_flat_workgroup_size: 64
    .name:           _Z6kernelI6reduceILN6hipcub20BlockReduceAlgorithmE1EEdLj64ELj2ELj100EEvPKT0_PS4_
    .private_segment_fixed_size: 0
    .sgpr_count:     18
    .sgpr_spill_count: 0
    .symbol:         _Z6kernelI6reduceILN6hipcub20BlockReduceAlgorithmE1EEdLj64ELj2ELj100EEvPKT0_PS4_.kd
    .uniform_work_group_size: 1
    .uses_dynamic_stack: false
    .vgpr_count:     12
    .vgpr_spill_count: 0
    .wavefront_size: 32
    .workgroup_processor_mode: 1
  - .args:
      - .address_space:  global
        .offset:         0
        .size:           8
        .value_kind:     global_buffer
      - .address_space:  global
        .offset:         8
        .size:           8
        .value_kind:     global_buffer
      - .offset:         16
        .size:           4
        .value_kind:     hidden_block_count_x
      - .offset:         20
        .size:           4
        .value_kind:     hidden_block_count_y
      - .offset:         24
        .size:           4
        .value_kind:     hidden_block_count_z
      - .offset:         28
        .size:           2
        .value_kind:     hidden_group_size_x
      - .offset:         30
        .size:           2
        .value_kind:     hidden_group_size_y
      - .offset:         32
        .size:           2
        .value_kind:     hidden_group_size_z
      - .offset:         34
        .size:           2
        .value_kind:     hidden_remainder_x
      - .offset:         36
        .size:           2
        .value_kind:     hidden_remainder_y
      - .offset:         38
        .size:           2
        .value_kind:     hidden_remainder_z
      - .offset:         56
        .size:           8
        .value_kind:     hidden_global_offset_x
      - .offset:         64
        .size:           8
        .value_kind:     hidden_global_offset_y
      - .offset:         72
        .size:           8
        .value_kind:     hidden_global_offset_z
      - .offset:         80
        .size:           2
        .value_kind:     hidden_grid_dims
    .group_segment_fixed_size: 512
    .kernarg_segment_align: 8
    .kernarg_segment_size: 272
    .language:       OpenCL C
    .language_version:
      - 2
      - 0
    .max_flat_workgroup_size: 64
    .name:           _Z6kernelI6reduceILN6hipcub20BlockReduceAlgorithmE1EEdLj64ELj3ELj100EEvPKT0_PS4_
    .private_segment_fixed_size: 0
    .sgpr_count:     18
    .sgpr_spill_count: 0
    .symbol:         _Z6kernelI6reduceILN6hipcub20BlockReduceAlgorithmE1EEdLj64ELj3ELj100EEvPKT0_PS4_.kd
    .uniform_work_group_size: 1
    .uses_dynamic_stack: false
    .vgpr_count:     14
    .vgpr_spill_count: 0
    .wavefront_size: 32
    .workgroup_processor_mode: 1
  - .args:
      - .address_space:  global
        .offset:         0
        .size:           8
        .value_kind:     global_buffer
      - .address_space:  global
        .offset:         8
        .size:           8
        .value_kind:     global_buffer
      - .offset:         16
        .size:           4
        .value_kind:     hidden_block_count_x
      - .offset:         20
        .size:           4
        .value_kind:     hidden_block_count_y
      - .offset:         24
        .size:           4
        .value_kind:     hidden_block_count_z
      - .offset:         28
        .size:           2
        .value_kind:     hidden_group_size_x
      - .offset:         30
        .size:           2
        .value_kind:     hidden_group_size_y
      - .offset:         32
        .size:           2
        .value_kind:     hidden_group_size_z
      - .offset:         34
        .size:           2
        .value_kind:     hidden_remainder_x
      - .offset:         36
        .size:           2
        .value_kind:     hidden_remainder_y
      - .offset:         38
        .size:           2
        .value_kind:     hidden_remainder_z
      - .offset:         56
        .size:           8
        .value_kind:     hidden_global_offset_x
      - .offset:         64
        .size:           8
        .value_kind:     hidden_global_offset_y
      - .offset:         72
        .size:           8
        .value_kind:     hidden_global_offset_z
      - .offset:         80
        .size:           2
        .value_kind:     hidden_grid_dims
    .group_segment_fixed_size: 512
    .kernarg_segment_align: 8
    .kernarg_segment_size: 272
    .language:       OpenCL C
    .language_version:
      - 2
      - 0
    .max_flat_workgroup_size: 64
    .name:           _Z6kernelI6reduceILN6hipcub20BlockReduceAlgorithmE1EEdLj64ELj4ELj100EEvPKT0_PS4_
    .private_segment_fixed_size: 0
    .sgpr_count:     18
    .sgpr_spill_count: 0
    .symbol:         _Z6kernelI6reduceILN6hipcub20BlockReduceAlgorithmE1EEdLj64ELj4ELj100EEvPKT0_PS4_.kd
    .uniform_work_group_size: 1
    .uses_dynamic_stack: false
    .vgpr_count:     16
    .vgpr_spill_count: 0
    .wavefront_size: 32
    .workgroup_processor_mode: 1
  - .args:
      - .address_space:  global
        .offset:         0
        .size:           8
        .value_kind:     global_buffer
      - .address_space:  global
        .offset:         8
        .size:           8
        .value_kind:     global_buffer
      - .offset:         16
        .size:           4
        .value_kind:     hidden_block_count_x
      - .offset:         20
        .size:           4
        .value_kind:     hidden_block_count_y
      - .offset:         24
        .size:           4
        .value_kind:     hidden_block_count_z
      - .offset:         28
        .size:           2
        .value_kind:     hidden_group_size_x
      - .offset:         30
        .size:           2
        .value_kind:     hidden_group_size_y
      - .offset:         32
        .size:           2
        .value_kind:     hidden_group_size_z
      - .offset:         34
        .size:           2
        .value_kind:     hidden_remainder_x
      - .offset:         36
        .size:           2
        .value_kind:     hidden_remainder_y
      - .offset:         38
        .size:           2
        .value_kind:     hidden_remainder_z
      - .offset:         56
        .size:           8
        .value_kind:     hidden_global_offset_x
      - .offset:         64
        .size:           8
        .value_kind:     hidden_global_offset_y
      - .offset:         72
        .size:           8
        .value_kind:     hidden_global_offset_z
      - .offset:         80
        .size:           2
        .value_kind:     hidden_grid_dims
    .group_segment_fixed_size: 512
    .kernarg_segment_align: 8
    .kernarg_segment_size: 272
    .language:       OpenCL C
    .language_version:
      - 2
      - 0
    .max_flat_workgroup_size: 64
    .name:           _Z6kernelI6reduceILN6hipcub20BlockReduceAlgorithmE1EEdLj64ELj8ELj100EEvPKT0_PS4_
    .private_segment_fixed_size: 0
    .sgpr_count:     18
    .sgpr_spill_count: 0
    .symbol:         _Z6kernelI6reduceILN6hipcub20BlockReduceAlgorithmE1EEdLj64ELj8ELj100EEvPKT0_PS4_.kd
    .uniform_work_group_size: 1
    .uses_dynamic_stack: false
    .vgpr_count:     24
    .vgpr_spill_count: 0
    .wavefront_size: 32
    .workgroup_processor_mode: 1
  - .args:
      - .address_space:  global
        .offset:         0
        .size:           8
        .value_kind:     global_buffer
      - .address_space:  global
        .offset:         8
        .size:           8
        .value_kind:     global_buffer
      - .offset:         16
        .size:           4
        .value_kind:     hidden_block_count_x
      - .offset:         20
        .size:           4
        .value_kind:     hidden_block_count_y
      - .offset:         24
        .size:           4
        .value_kind:     hidden_block_count_z
      - .offset:         28
        .size:           2
        .value_kind:     hidden_group_size_x
      - .offset:         30
        .size:           2
        .value_kind:     hidden_group_size_y
      - .offset:         32
        .size:           2
        .value_kind:     hidden_group_size_z
      - .offset:         34
        .size:           2
        .value_kind:     hidden_remainder_x
      - .offset:         36
        .size:           2
        .value_kind:     hidden_remainder_y
      - .offset:         38
        .size:           2
        .value_kind:     hidden_remainder_z
      - .offset:         56
        .size:           8
        .value_kind:     hidden_global_offset_x
      - .offset:         64
        .size:           8
        .value_kind:     hidden_global_offset_y
      - .offset:         72
        .size:           8
        .value_kind:     hidden_global_offset_z
      - .offset:         80
        .size:           2
        .value_kind:     hidden_grid_dims
    .group_segment_fixed_size: 512
    .kernarg_segment_align: 8
    .kernarg_segment_size: 272
    .language:       OpenCL C
    .language_version:
      - 2
      - 0
    .max_flat_workgroup_size: 64
    .name:           _Z6kernelI6reduceILN6hipcub20BlockReduceAlgorithmE1EEdLj64ELj11ELj100EEvPKT0_PS4_
    .private_segment_fixed_size: 0
    .sgpr_count:     18
    .sgpr_spill_count: 0
    .symbol:         _Z6kernelI6reduceILN6hipcub20BlockReduceAlgorithmE1EEdLj64ELj11ELj100EEvPKT0_PS4_.kd
    .uniform_work_group_size: 1
    .uses_dynamic_stack: false
    .vgpr_count:     30
    .vgpr_spill_count: 0
    .wavefront_size: 32
    .workgroup_processor_mode: 1
  - .args:
      - .address_space:  global
        .offset:         0
        .size:           8
        .value_kind:     global_buffer
      - .address_space:  global
        .offset:         8
        .size:           8
        .value_kind:     global_buffer
      - .offset:         16
        .size:           4
        .value_kind:     hidden_block_count_x
      - .offset:         20
        .size:           4
        .value_kind:     hidden_block_count_y
      - .offset:         24
        .size:           4
        .value_kind:     hidden_block_count_z
      - .offset:         28
        .size:           2
        .value_kind:     hidden_group_size_x
      - .offset:         30
        .size:           2
        .value_kind:     hidden_group_size_y
      - .offset:         32
        .size:           2
        .value_kind:     hidden_group_size_z
      - .offset:         34
        .size:           2
        .value_kind:     hidden_remainder_x
      - .offset:         36
        .size:           2
        .value_kind:     hidden_remainder_y
      - .offset:         38
        .size:           2
        .value_kind:     hidden_remainder_z
      - .offset:         56
        .size:           8
        .value_kind:     hidden_global_offset_x
      - .offset:         64
        .size:           8
        .value_kind:     hidden_global_offset_y
      - .offset:         72
        .size:           8
        .value_kind:     hidden_global_offset_z
      - .offset:         80
        .size:           2
        .value_kind:     hidden_grid_dims
    .group_segment_fixed_size: 512
    .kernarg_segment_align: 8
    .kernarg_segment_size: 272
    .language:       OpenCL C
    .language_version:
      - 2
      - 0
    .max_flat_workgroup_size: 64
    .name:           _Z6kernelI6reduceILN6hipcub20BlockReduceAlgorithmE1EEdLj64ELj16ELj100EEvPKT0_PS4_
    .private_segment_fixed_size: 0
    .sgpr_count:     18
    .sgpr_spill_count: 0
    .symbol:         _Z6kernelI6reduceILN6hipcub20BlockReduceAlgorithmE1EEdLj64ELj16ELj100EEvPKT0_PS4_.kd
    .uniform_work_group_size: 1
    .uses_dynamic_stack: false
    .vgpr_count:     40
    .vgpr_spill_count: 0
    .wavefront_size: 32
    .workgroup_processor_mode: 1
  - .args:
      - .address_space:  global
        .offset:         0
        .size:           8
        .value_kind:     global_buffer
      - .address_space:  global
        .offset:         8
        .size:           8
        .value_kind:     global_buffer
      - .offset:         16
        .size:           4
        .value_kind:     hidden_block_count_x
      - .offset:         20
        .size:           4
        .value_kind:     hidden_block_count_y
      - .offset:         24
        .size:           4
        .value_kind:     hidden_block_count_z
      - .offset:         28
        .size:           2
        .value_kind:     hidden_group_size_x
      - .offset:         30
        .size:           2
        .value_kind:     hidden_group_size_y
      - .offset:         32
        .size:           2
        .value_kind:     hidden_group_size_z
      - .offset:         34
        .size:           2
        .value_kind:     hidden_remainder_x
      - .offset:         36
        .size:           2
        .value_kind:     hidden_remainder_y
      - .offset:         38
        .size:           2
        .value_kind:     hidden_remainder_z
      - .offset:         56
        .size:           8
        .value_kind:     hidden_global_offset_x
      - .offset:         64
        .size:           8
        .value_kind:     hidden_global_offset_y
      - .offset:         72
        .size:           8
        .value_kind:     hidden_global_offset_z
      - .offset:         80
        .size:           2
        .value_kind:     hidden_grid_dims
    .group_segment_fixed_size: 64
    .kernarg_segment_align: 8
    .kernarg_segment_size: 272
    .language:       OpenCL C
    .language_version:
      - 2
      - 0
    .max_flat_workgroup_size: 64
    .name:           _Z6kernelI6reduceILN6hipcub20BlockReduceAlgorithmE1EEaLj64ELj1ELj100EEvPKT0_PS4_
    .private_segment_fixed_size: 0
    .sgpr_count:     16
    .sgpr_spill_count: 0
    .symbol:         _Z6kernelI6reduceILN6hipcub20BlockReduceAlgorithmE1EEaLj64ELj1ELj100EEvPKT0_PS4_.kd
    .uniform_work_group_size: 1
    .uses_dynamic_stack: false
    .vgpr_count:     5
    .vgpr_spill_count: 0
    .wavefront_size: 32
    .workgroup_processor_mode: 1
  - .args:
      - .address_space:  global
        .offset:         0
        .size:           8
        .value_kind:     global_buffer
      - .address_space:  global
        .offset:         8
        .size:           8
        .value_kind:     global_buffer
      - .offset:         16
        .size:           4
        .value_kind:     hidden_block_count_x
      - .offset:         20
        .size:           4
        .value_kind:     hidden_block_count_y
      - .offset:         24
        .size:           4
        .value_kind:     hidden_block_count_z
      - .offset:         28
        .size:           2
        .value_kind:     hidden_group_size_x
      - .offset:         30
        .size:           2
        .value_kind:     hidden_group_size_y
      - .offset:         32
        .size:           2
        .value_kind:     hidden_group_size_z
      - .offset:         34
        .size:           2
        .value_kind:     hidden_remainder_x
      - .offset:         36
        .size:           2
        .value_kind:     hidden_remainder_y
      - .offset:         38
        .size:           2
        .value_kind:     hidden_remainder_z
      - .offset:         56
        .size:           8
        .value_kind:     hidden_global_offset_x
      - .offset:         64
        .size:           8
        .value_kind:     hidden_global_offset_y
      - .offset:         72
        .size:           8
        .value_kind:     hidden_global_offset_z
      - .offset:         80
        .size:           2
        .value_kind:     hidden_grid_dims
    .group_segment_fixed_size: 64
    .kernarg_segment_align: 8
    .kernarg_segment_size: 272
    .language:       OpenCL C
    .language_version:
      - 2
      - 0
    .max_flat_workgroup_size: 64
    .name:           _Z6kernelI6reduceILN6hipcub20BlockReduceAlgorithmE1EEaLj64ELj2ELj100EEvPKT0_PS4_
    .private_segment_fixed_size: 0
    .sgpr_count:     16
    .sgpr_spill_count: 0
    .symbol:         _Z6kernelI6reduceILN6hipcub20BlockReduceAlgorithmE1EEaLj64ELj2ELj100EEvPKT0_PS4_.kd
    .uniform_work_group_size: 1
    .uses_dynamic_stack: false
    .vgpr_count:     6
    .vgpr_spill_count: 0
    .wavefront_size: 32
    .workgroup_processor_mode: 1
  - .args:
      - .address_space:  global
        .offset:         0
        .size:           8
        .value_kind:     global_buffer
      - .address_space:  global
        .offset:         8
        .size:           8
        .value_kind:     global_buffer
      - .offset:         16
        .size:           4
        .value_kind:     hidden_block_count_x
      - .offset:         20
        .size:           4
        .value_kind:     hidden_block_count_y
      - .offset:         24
        .size:           4
        .value_kind:     hidden_block_count_z
      - .offset:         28
        .size:           2
        .value_kind:     hidden_group_size_x
      - .offset:         30
        .size:           2
        .value_kind:     hidden_group_size_y
      - .offset:         32
        .size:           2
        .value_kind:     hidden_group_size_z
      - .offset:         34
        .size:           2
        .value_kind:     hidden_remainder_x
      - .offset:         36
        .size:           2
        .value_kind:     hidden_remainder_y
      - .offset:         38
        .size:           2
        .value_kind:     hidden_remainder_z
      - .offset:         56
        .size:           8
        .value_kind:     hidden_global_offset_x
      - .offset:         64
        .size:           8
        .value_kind:     hidden_global_offset_y
      - .offset:         72
        .size:           8
        .value_kind:     hidden_global_offset_z
      - .offset:         80
        .size:           2
        .value_kind:     hidden_grid_dims
    .group_segment_fixed_size: 64
    .kernarg_segment_align: 8
    .kernarg_segment_size: 272
    .language:       OpenCL C
    .language_version:
      - 2
      - 0
    .max_flat_workgroup_size: 64
    .name:           _Z6kernelI6reduceILN6hipcub20BlockReduceAlgorithmE1EEaLj64ELj3ELj100EEvPKT0_PS4_
    .private_segment_fixed_size: 0
    .sgpr_count:     16
    .sgpr_spill_count: 0
    .symbol:         _Z6kernelI6reduceILN6hipcub20BlockReduceAlgorithmE1EEaLj64ELj3ELj100EEvPKT0_PS4_.kd
    .uniform_work_group_size: 1
    .uses_dynamic_stack: false
    .vgpr_count:     7
    .vgpr_spill_count: 0
    .wavefront_size: 32
    .workgroup_processor_mode: 1
  - .args:
      - .address_space:  global
        .offset:         0
        .size:           8
        .value_kind:     global_buffer
      - .address_space:  global
        .offset:         8
        .size:           8
        .value_kind:     global_buffer
      - .offset:         16
        .size:           4
        .value_kind:     hidden_block_count_x
      - .offset:         20
        .size:           4
        .value_kind:     hidden_block_count_y
      - .offset:         24
        .size:           4
        .value_kind:     hidden_block_count_z
      - .offset:         28
        .size:           2
        .value_kind:     hidden_group_size_x
      - .offset:         30
        .size:           2
        .value_kind:     hidden_group_size_y
      - .offset:         32
        .size:           2
        .value_kind:     hidden_group_size_z
      - .offset:         34
        .size:           2
        .value_kind:     hidden_remainder_x
      - .offset:         36
        .size:           2
        .value_kind:     hidden_remainder_y
      - .offset:         38
        .size:           2
        .value_kind:     hidden_remainder_z
      - .offset:         56
        .size:           8
        .value_kind:     hidden_global_offset_x
      - .offset:         64
        .size:           8
        .value_kind:     hidden_global_offset_y
      - .offset:         72
        .size:           8
        .value_kind:     hidden_global_offset_z
      - .offset:         80
        .size:           2
        .value_kind:     hidden_grid_dims
    .group_segment_fixed_size: 64
    .kernarg_segment_align: 8
    .kernarg_segment_size: 272
    .language:       OpenCL C
    .language_version:
      - 2
      - 0
    .max_flat_workgroup_size: 64
    .name:           _Z6kernelI6reduceILN6hipcub20BlockReduceAlgorithmE1EEaLj64ELj4ELj100EEvPKT0_PS4_
    .private_segment_fixed_size: 0
    .sgpr_count:     16
    .sgpr_spill_count: 0
    .symbol:         _Z6kernelI6reduceILN6hipcub20BlockReduceAlgorithmE1EEaLj64ELj4ELj100EEvPKT0_PS4_.kd
    .uniform_work_group_size: 1
    .uses_dynamic_stack: false
    .vgpr_count:     7
    .vgpr_spill_count: 0
    .wavefront_size: 32
    .workgroup_processor_mode: 1
  - .args:
      - .address_space:  global
        .offset:         0
        .size:           8
        .value_kind:     global_buffer
      - .address_space:  global
        .offset:         8
        .size:           8
        .value_kind:     global_buffer
      - .offset:         16
        .size:           4
        .value_kind:     hidden_block_count_x
      - .offset:         20
        .size:           4
        .value_kind:     hidden_block_count_y
      - .offset:         24
        .size:           4
        .value_kind:     hidden_block_count_z
      - .offset:         28
        .size:           2
        .value_kind:     hidden_group_size_x
      - .offset:         30
        .size:           2
        .value_kind:     hidden_group_size_y
      - .offset:         32
        .size:           2
        .value_kind:     hidden_group_size_z
      - .offset:         34
        .size:           2
        .value_kind:     hidden_remainder_x
      - .offset:         36
        .size:           2
        .value_kind:     hidden_remainder_y
      - .offset:         38
        .size:           2
        .value_kind:     hidden_remainder_z
      - .offset:         56
        .size:           8
        .value_kind:     hidden_global_offset_x
      - .offset:         64
        .size:           8
        .value_kind:     hidden_global_offset_y
      - .offset:         72
        .size:           8
        .value_kind:     hidden_global_offset_z
      - .offset:         80
        .size:           2
        .value_kind:     hidden_grid_dims
    .group_segment_fixed_size: 64
    .kernarg_segment_align: 8
    .kernarg_segment_size: 272
    .language:       OpenCL C
    .language_version:
      - 2
      - 0
    .max_flat_workgroup_size: 64
    .name:           _Z6kernelI6reduceILN6hipcub20BlockReduceAlgorithmE1EEaLj64ELj8ELj100EEvPKT0_PS4_
    .private_segment_fixed_size: 0
    .sgpr_count:     16
    .sgpr_spill_count: 0
    .symbol:         _Z6kernelI6reduceILN6hipcub20BlockReduceAlgorithmE1EEaLj64ELj8ELj100EEvPKT0_PS4_.kd
    .uniform_work_group_size: 1
    .uses_dynamic_stack: false
    .vgpr_count:     11
    .vgpr_spill_count: 0
    .wavefront_size: 32
    .workgroup_processor_mode: 1
  - .args:
      - .address_space:  global
        .offset:         0
        .size:           8
        .value_kind:     global_buffer
      - .address_space:  global
        .offset:         8
        .size:           8
        .value_kind:     global_buffer
      - .offset:         16
        .size:           4
        .value_kind:     hidden_block_count_x
      - .offset:         20
        .size:           4
        .value_kind:     hidden_block_count_y
      - .offset:         24
        .size:           4
        .value_kind:     hidden_block_count_z
      - .offset:         28
        .size:           2
        .value_kind:     hidden_group_size_x
      - .offset:         30
        .size:           2
        .value_kind:     hidden_group_size_y
      - .offset:         32
        .size:           2
        .value_kind:     hidden_group_size_z
      - .offset:         34
        .size:           2
        .value_kind:     hidden_remainder_x
      - .offset:         36
        .size:           2
        .value_kind:     hidden_remainder_y
      - .offset:         38
        .size:           2
        .value_kind:     hidden_remainder_z
      - .offset:         56
        .size:           8
        .value_kind:     hidden_global_offset_x
      - .offset:         64
        .size:           8
        .value_kind:     hidden_global_offset_y
      - .offset:         72
        .size:           8
        .value_kind:     hidden_global_offset_z
      - .offset:         80
        .size:           2
        .value_kind:     hidden_grid_dims
    .group_segment_fixed_size: 64
    .kernarg_segment_align: 8
    .kernarg_segment_size: 272
    .language:       OpenCL C
    .language_version:
      - 2
      - 0
    .max_flat_workgroup_size: 64
    .name:           _Z6kernelI6reduceILN6hipcub20BlockReduceAlgorithmE1EEaLj64ELj11ELj100EEvPKT0_PS4_
    .private_segment_fixed_size: 0
    .sgpr_count:     16
    .sgpr_spill_count: 0
    .symbol:         _Z6kernelI6reduceILN6hipcub20BlockReduceAlgorithmE1EEaLj64ELj11ELj100EEvPKT0_PS4_.kd
    .uniform_work_group_size: 1
    .uses_dynamic_stack: false
    .vgpr_count:     14
    .vgpr_spill_count: 0
    .wavefront_size: 32
    .workgroup_processor_mode: 1
  - .args:
      - .address_space:  global
        .offset:         0
        .size:           8
        .value_kind:     global_buffer
      - .address_space:  global
        .offset:         8
        .size:           8
        .value_kind:     global_buffer
      - .offset:         16
        .size:           4
        .value_kind:     hidden_block_count_x
      - .offset:         20
        .size:           4
        .value_kind:     hidden_block_count_y
      - .offset:         24
        .size:           4
        .value_kind:     hidden_block_count_z
      - .offset:         28
        .size:           2
        .value_kind:     hidden_group_size_x
      - .offset:         30
        .size:           2
        .value_kind:     hidden_group_size_y
      - .offset:         32
        .size:           2
        .value_kind:     hidden_group_size_z
      - .offset:         34
        .size:           2
        .value_kind:     hidden_remainder_x
      - .offset:         36
        .size:           2
        .value_kind:     hidden_remainder_y
      - .offset:         38
        .size:           2
        .value_kind:     hidden_remainder_z
      - .offset:         56
        .size:           8
        .value_kind:     hidden_global_offset_x
      - .offset:         64
        .size:           8
        .value_kind:     hidden_global_offset_y
      - .offset:         72
        .size:           8
        .value_kind:     hidden_global_offset_z
      - .offset:         80
        .size:           2
        .value_kind:     hidden_grid_dims
    .group_segment_fixed_size: 64
    .kernarg_segment_align: 8
    .kernarg_segment_size: 272
    .language:       OpenCL C
    .language_version:
      - 2
      - 0
    .max_flat_workgroup_size: 64
    .name:           _Z6kernelI6reduceILN6hipcub20BlockReduceAlgorithmE1EEaLj64ELj16ELj100EEvPKT0_PS4_
    .private_segment_fixed_size: 0
    .sgpr_count:     16
    .sgpr_spill_count: 0
    .symbol:         _Z6kernelI6reduceILN6hipcub20BlockReduceAlgorithmE1EEaLj64ELj16ELj100EEvPKT0_PS4_.kd
    .uniform_work_group_size: 1
    .uses_dynamic_stack: false
    .vgpr_count:     19
    .vgpr_spill_count: 0
    .wavefront_size: 32
    .workgroup_processor_mode: 1
  - .args:
      - .address_space:  global
        .offset:         0
        .size:           8
        .value_kind:     global_buffer
      - .address_space:  global
        .offset:         8
        .size:           8
        .value_kind:     global_buffer
      - .offset:         16
        .size:           4
        .value_kind:     hidden_block_count_x
      - .offset:         20
        .size:           4
        .value_kind:     hidden_block_count_y
      - .offset:         24
        .size:           4
        .value_kind:     hidden_block_count_z
      - .offset:         28
        .size:           2
        .value_kind:     hidden_group_size_x
      - .offset:         30
        .size:           2
        .value_kind:     hidden_group_size_y
      - .offset:         32
        .size:           2
        .value_kind:     hidden_group_size_z
      - .offset:         34
        .size:           2
        .value_kind:     hidden_remainder_x
      - .offset:         36
        .size:           2
        .value_kind:     hidden_remainder_y
      - .offset:         38
        .size:           2
        .value_kind:     hidden_remainder_z
      - .offset:         56
        .size:           8
        .value_kind:     hidden_global_offset_x
      - .offset:         64
        .size:           8
        .value_kind:     hidden_global_offset_y
      - .offset:         72
        .size:           8
        .value_kind:     hidden_global_offset_z
      - .offset:         80
        .size:           2
        .value_kind:     hidden_grid_dims
    .group_segment_fixed_size: 64
    .kernarg_segment_align: 8
    .kernarg_segment_size: 272
    .language:       OpenCL C
    .language_version:
      - 2
      - 0
    .max_flat_workgroup_size: 64
    .name:           _Z6kernelI6reduceILN6hipcub20BlockReduceAlgorithmE1EEhLj64ELj1ELj100EEvPKT0_PS4_
    .private_segment_fixed_size: 0
    .sgpr_count:     16
    .sgpr_spill_count: 0
    .symbol:         _Z6kernelI6reduceILN6hipcub20BlockReduceAlgorithmE1EEhLj64ELj1ELj100EEvPKT0_PS4_.kd
    .uniform_work_group_size: 1
    .uses_dynamic_stack: false
    .vgpr_count:     5
    .vgpr_spill_count: 0
    .wavefront_size: 32
    .workgroup_processor_mode: 1
  - .args:
      - .address_space:  global
        .offset:         0
        .size:           8
        .value_kind:     global_buffer
      - .address_space:  global
        .offset:         8
        .size:           8
        .value_kind:     global_buffer
      - .offset:         16
        .size:           4
        .value_kind:     hidden_block_count_x
      - .offset:         20
        .size:           4
        .value_kind:     hidden_block_count_y
      - .offset:         24
        .size:           4
        .value_kind:     hidden_block_count_z
      - .offset:         28
        .size:           2
        .value_kind:     hidden_group_size_x
      - .offset:         30
        .size:           2
        .value_kind:     hidden_group_size_y
      - .offset:         32
        .size:           2
        .value_kind:     hidden_group_size_z
      - .offset:         34
        .size:           2
        .value_kind:     hidden_remainder_x
      - .offset:         36
        .size:           2
        .value_kind:     hidden_remainder_y
      - .offset:         38
        .size:           2
        .value_kind:     hidden_remainder_z
      - .offset:         56
        .size:           8
        .value_kind:     hidden_global_offset_x
      - .offset:         64
        .size:           8
        .value_kind:     hidden_global_offset_y
      - .offset:         72
        .size:           8
        .value_kind:     hidden_global_offset_z
      - .offset:         80
        .size:           2
        .value_kind:     hidden_grid_dims
    .group_segment_fixed_size: 64
    .kernarg_segment_align: 8
    .kernarg_segment_size: 272
    .language:       OpenCL C
    .language_version:
      - 2
      - 0
    .max_flat_workgroup_size: 64
    .name:           _Z6kernelI6reduceILN6hipcub20BlockReduceAlgorithmE1EEhLj64ELj2ELj100EEvPKT0_PS4_
    .private_segment_fixed_size: 0
    .sgpr_count:     16
    .sgpr_spill_count: 0
    .symbol:         _Z6kernelI6reduceILN6hipcub20BlockReduceAlgorithmE1EEhLj64ELj2ELj100EEvPKT0_PS4_.kd
    .uniform_work_group_size: 1
    .uses_dynamic_stack: false
    .vgpr_count:     6
    .vgpr_spill_count: 0
    .wavefront_size: 32
    .workgroup_processor_mode: 1
  - .args:
      - .address_space:  global
        .offset:         0
        .size:           8
        .value_kind:     global_buffer
      - .address_space:  global
        .offset:         8
        .size:           8
        .value_kind:     global_buffer
      - .offset:         16
        .size:           4
        .value_kind:     hidden_block_count_x
      - .offset:         20
        .size:           4
        .value_kind:     hidden_block_count_y
      - .offset:         24
        .size:           4
        .value_kind:     hidden_block_count_z
      - .offset:         28
        .size:           2
        .value_kind:     hidden_group_size_x
      - .offset:         30
        .size:           2
        .value_kind:     hidden_group_size_y
      - .offset:         32
        .size:           2
        .value_kind:     hidden_group_size_z
      - .offset:         34
        .size:           2
        .value_kind:     hidden_remainder_x
      - .offset:         36
        .size:           2
        .value_kind:     hidden_remainder_y
      - .offset:         38
        .size:           2
        .value_kind:     hidden_remainder_z
      - .offset:         56
        .size:           8
        .value_kind:     hidden_global_offset_x
      - .offset:         64
        .size:           8
        .value_kind:     hidden_global_offset_y
      - .offset:         72
        .size:           8
        .value_kind:     hidden_global_offset_z
      - .offset:         80
        .size:           2
        .value_kind:     hidden_grid_dims
    .group_segment_fixed_size: 64
    .kernarg_segment_align: 8
    .kernarg_segment_size: 272
    .language:       OpenCL C
    .language_version:
      - 2
      - 0
    .max_flat_workgroup_size: 64
    .name:           _Z6kernelI6reduceILN6hipcub20BlockReduceAlgorithmE1EEhLj64ELj3ELj100EEvPKT0_PS4_
    .private_segment_fixed_size: 0
    .sgpr_count:     16
    .sgpr_spill_count: 0
    .symbol:         _Z6kernelI6reduceILN6hipcub20BlockReduceAlgorithmE1EEhLj64ELj3ELj100EEvPKT0_PS4_.kd
    .uniform_work_group_size: 1
    .uses_dynamic_stack: false
    .vgpr_count:     7
    .vgpr_spill_count: 0
    .wavefront_size: 32
    .workgroup_processor_mode: 1
  - .args:
      - .address_space:  global
        .offset:         0
        .size:           8
        .value_kind:     global_buffer
      - .address_space:  global
        .offset:         8
        .size:           8
        .value_kind:     global_buffer
      - .offset:         16
        .size:           4
        .value_kind:     hidden_block_count_x
      - .offset:         20
        .size:           4
        .value_kind:     hidden_block_count_y
      - .offset:         24
        .size:           4
        .value_kind:     hidden_block_count_z
      - .offset:         28
        .size:           2
        .value_kind:     hidden_group_size_x
      - .offset:         30
        .size:           2
        .value_kind:     hidden_group_size_y
      - .offset:         32
        .size:           2
        .value_kind:     hidden_group_size_z
      - .offset:         34
        .size:           2
        .value_kind:     hidden_remainder_x
      - .offset:         36
        .size:           2
        .value_kind:     hidden_remainder_y
      - .offset:         38
        .size:           2
        .value_kind:     hidden_remainder_z
      - .offset:         56
        .size:           8
        .value_kind:     hidden_global_offset_x
      - .offset:         64
        .size:           8
        .value_kind:     hidden_global_offset_y
      - .offset:         72
        .size:           8
        .value_kind:     hidden_global_offset_z
      - .offset:         80
        .size:           2
        .value_kind:     hidden_grid_dims
    .group_segment_fixed_size: 64
    .kernarg_segment_align: 8
    .kernarg_segment_size: 272
    .language:       OpenCL C
    .language_version:
      - 2
      - 0
    .max_flat_workgroup_size: 64
    .name:           _Z6kernelI6reduceILN6hipcub20BlockReduceAlgorithmE1EEhLj64ELj4ELj100EEvPKT0_PS4_
    .private_segment_fixed_size: 0
    .sgpr_count:     16
    .sgpr_spill_count: 0
    .symbol:         _Z6kernelI6reduceILN6hipcub20BlockReduceAlgorithmE1EEhLj64ELj4ELj100EEvPKT0_PS4_.kd
    .uniform_work_group_size: 1
    .uses_dynamic_stack: false
    .vgpr_count:     7
    .vgpr_spill_count: 0
    .wavefront_size: 32
    .workgroup_processor_mode: 1
  - .args:
      - .address_space:  global
        .offset:         0
        .size:           8
        .value_kind:     global_buffer
      - .address_space:  global
        .offset:         8
        .size:           8
        .value_kind:     global_buffer
      - .offset:         16
        .size:           4
        .value_kind:     hidden_block_count_x
      - .offset:         20
        .size:           4
        .value_kind:     hidden_block_count_y
      - .offset:         24
        .size:           4
        .value_kind:     hidden_block_count_z
      - .offset:         28
        .size:           2
        .value_kind:     hidden_group_size_x
      - .offset:         30
        .size:           2
        .value_kind:     hidden_group_size_y
      - .offset:         32
        .size:           2
        .value_kind:     hidden_group_size_z
      - .offset:         34
        .size:           2
        .value_kind:     hidden_remainder_x
      - .offset:         36
        .size:           2
        .value_kind:     hidden_remainder_y
      - .offset:         38
        .size:           2
        .value_kind:     hidden_remainder_z
      - .offset:         56
        .size:           8
        .value_kind:     hidden_global_offset_x
      - .offset:         64
        .size:           8
        .value_kind:     hidden_global_offset_y
      - .offset:         72
        .size:           8
        .value_kind:     hidden_global_offset_z
      - .offset:         80
        .size:           2
        .value_kind:     hidden_grid_dims
    .group_segment_fixed_size: 64
    .kernarg_segment_align: 8
    .kernarg_segment_size: 272
    .language:       OpenCL C
    .language_version:
      - 2
      - 0
    .max_flat_workgroup_size: 64
    .name:           _Z6kernelI6reduceILN6hipcub20BlockReduceAlgorithmE1EEhLj64ELj8ELj100EEvPKT0_PS4_
    .private_segment_fixed_size: 0
    .sgpr_count:     16
    .sgpr_spill_count: 0
    .symbol:         _Z6kernelI6reduceILN6hipcub20BlockReduceAlgorithmE1EEhLj64ELj8ELj100EEvPKT0_PS4_.kd
    .uniform_work_group_size: 1
    .uses_dynamic_stack: false
    .vgpr_count:     11
    .vgpr_spill_count: 0
    .wavefront_size: 32
    .workgroup_processor_mode: 1
  - .args:
      - .address_space:  global
        .offset:         0
        .size:           8
        .value_kind:     global_buffer
      - .address_space:  global
        .offset:         8
        .size:           8
        .value_kind:     global_buffer
      - .offset:         16
        .size:           4
        .value_kind:     hidden_block_count_x
      - .offset:         20
        .size:           4
        .value_kind:     hidden_block_count_y
      - .offset:         24
        .size:           4
        .value_kind:     hidden_block_count_z
      - .offset:         28
        .size:           2
        .value_kind:     hidden_group_size_x
      - .offset:         30
        .size:           2
        .value_kind:     hidden_group_size_y
      - .offset:         32
        .size:           2
        .value_kind:     hidden_group_size_z
      - .offset:         34
        .size:           2
        .value_kind:     hidden_remainder_x
      - .offset:         36
        .size:           2
        .value_kind:     hidden_remainder_y
      - .offset:         38
        .size:           2
        .value_kind:     hidden_remainder_z
      - .offset:         56
        .size:           8
        .value_kind:     hidden_global_offset_x
      - .offset:         64
        .size:           8
        .value_kind:     hidden_global_offset_y
      - .offset:         72
        .size:           8
        .value_kind:     hidden_global_offset_z
      - .offset:         80
        .size:           2
        .value_kind:     hidden_grid_dims
    .group_segment_fixed_size: 64
    .kernarg_segment_align: 8
    .kernarg_segment_size: 272
    .language:       OpenCL C
    .language_version:
      - 2
      - 0
    .max_flat_workgroup_size: 64
    .name:           _Z6kernelI6reduceILN6hipcub20BlockReduceAlgorithmE1EEhLj64ELj11ELj100EEvPKT0_PS4_
    .private_segment_fixed_size: 0
    .sgpr_count:     16
    .sgpr_spill_count: 0
    .symbol:         _Z6kernelI6reduceILN6hipcub20BlockReduceAlgorithmE1EEhLj64ELj11ELj100EEvPKT0_PS4_.kd
    .uniform_work_group_size: 1
    .uses_dynamic_stack: false
    .vgpr_count:     14
    .vgpr_spill_count: 0
    .wavefront_size: 32
    .workgroup_processor_mode: 1
  - .args:
      - .address_space:  global
        .offset:         0
        .size:           8
        .value_kind:     global_buffer
      - .address_space:  global
        .offset:         8
        .size:           8
        .value_kind:     global_buffer
      - .offset:         16
        .size:           4
        .value_kind:     hidden_block_count_x
      - .offset:         20
        .size:           4
        .value_kind:     hidden_block_count_y
      - .offset:         24
        .size:           4
        .value_kind:     hidden_block_count_z
      - .offset:         28
        .size:           2
        .value_kind:     hidden_group_size_x
      - .offset:         30
        .size:           2
        .value_kind:     hidden_group_size_y
      - .offset:         32
        .size:           2
        .value_kind:     hidden_group_size_z
      - .offset:         34
        .size:           2
        .value_kind:     hidden_remainder_x
      - .offset:         36
        .size:           2
        .value_kind:     hidden_remainder_y
      - .offset:         38
        .size:           2
        .value_kind:     hidden_remainder_z
      - .offset:         56
        .size:           8
        .value_kind:     hidden_global_offset_x
      - .offset:         64
        .size:           8
        .value_kind:     hidden_global_offset_y
      - .offset:         72
        .size:           8
        .value_kind:     hidden_global_offset_z
      - .offset:         80
        .size:           2
        .value_kind:     hidden_grid_dims
    .group_segment_fixed_size: 64
    .kernarg_segment_align: 8
    .kernarg_segment_size: 272
    .language:       OpenCL C
    .language_version:
      - 2
      - 0
    .max_flat_workgroup_size: 64
    .name:           _Z6kernelI6reduceILN6hipcub20BlockReduceAlgorithmE1EEhLj64ELj16ELj100EEvPKT0_PS4_
    .private_segment_fixed_size: 0
    .sgpr_count:     16
    .sgpr_spill_count: 0
    .symbol:         _Z6kernelI6reduceILN6hipcub20BlockReduceAlgorithmE1EEhLj64ELj16ELj100EEvPKT0_PS4_.kd
    .uniform_work_group_size: 1
    .uses_dynamic_stack: false
    .vgpr_count:     19
    .vgpr_spill_count: 0
    .wavefront_size: 32
    .workgroup_processor_mode: 1
  - .args:
      - .address_space:  global
        .offset:         0
        .size:           8
        .value_kind:     global_buffer
      - .address_space:  global
        .offset:         8
        .size:           8
        .value_kind:     global_buffer
      - .offset:         16
        .size:           4
        .value_kind:     hidden_block_count_x
      - .offset:         20
        .size:           4
        .value_kind:     hidden_block_count_y
      - .offset:         24
        .size:           4
        .value_kind:     hidden_block_count_z
      - .offset:         28
        .size:           2
        .value_kind:     hidden_group_size_x
      - .offset:         30
        .size:           2
        .value_kind:     hidden_group_size_y
      - .offset:         32
        .size:           2
        .value_kind:     hidden_group_size_z
      - .offset:         34
        .size:           2
        .value_kind:     hidden_remainder_x
      - .offset:         36
        .size:           2
        .value_kind:     hidden_remainder_y
      - .offset:         38
        .size:           2
        .value_kind:     hidden_remainder_z
      - .offset:         56
        .size:           8
        .value_kind:     hidden_global_offset_x
      - .offset:         64
        .size:           8
        .value_kind:     hidden_global_offset_y
      - .offset:         72
        .size:           8
        .value_kind:     hidden_global_offset_z
      - .offset:         80
        .size:           2
        .value_kind:     hidden_grid_dims
    .group_segment_fixed_size: 1024
    .kernarg_segment_align: 8
    .kernarg_segment_size: 272
    .language:       OpenCL C
    .language_version:
      - 2
      - 0
    .max_flat_workgroup_size: 256
    .name:           _Z6kernelI6reduceILN6hipcub20BlockReduceAlgorithmE1EEiLj256ELj1ELj100EEvPKT0_PS4_
    .private_segment_fixed_size: 0
    .sgpr_count:     18
    .sgpr_spill_count: 0
    .symbol:         _Z6kernelI6reduceILN6hipcub20BlockReduceAlgorithmE1EEiLj256ELj1ELj100EEvPKT0_PS4_.kd
    .uniform_work_group_size: 1
    .uses_dynamic_stack: false
    .vgpr_count:     13
    .vgpr_spill_count: 0
    .wavefront_size: 32
    .workgroup_processor_mode: 1
  - .args:
      - .address_space:  global
        .offset:         0
        .size:           8
        .value_kind:     global_buffer
      - .address_space:  global
        .offset:         8
        .size:           8
        .value_kind:     global_buffer
      - .offset:         16
        .size:           4
        .value_kind:     hidden_block_count_x
      - .offset:         20
        .size:           4
        .value_kind:     hidden_block_count_y
      - .offset:         24
        .size:           4
        .value_kind:     hidden_block_count_z
      - .offset:         28
        .size:           2
        .value_kind:     hidden_group_size_x
      - .offset:         30
        .size:           2
        .value_kind:     hidden_group_size_y
      - .offset:         32
        .size:           2
        .value_kind:     hidden_group_size_z
      - .offset:         34
        .size:           2
        .value_kind:     hidden_remainder_x
      - .offset:         36
        .size:           2
        .value_kind:     hidden_remainder_y
      - .offset:         38
        .size:           2
        .value_kind:     hidden_remainder_z
      - .offset:         56
        .size:           8
        .value_kind:     hidden_global_offset_x
      - .offset:         64
        .size:           8
        .value_kind:     hidden_global_offset_y
      - .offset:         72
        .size:           8
        .value_kind:     hidden_global_offset_z
      - .offset:         80
        .size:           2
        .value_kind:     hidden_grid_dims
    .group_segment_fixed_size: 1024
    .kernarg_segment_align: 8
    .kernarg_segment_size: 272
    .language:       OpenCL C
    .language_version:
      - 2
      - 0
    .max_flat_workgroup_size: 256
    .name:           _Z6kernelI6reduceILN6hipcub20BlockReduceAlgorithmE1EEiLj256ELj2ELj100EEvPKT0_PS4_
    .private_segment_fixed_size: 0
    .sgpr_count:     18
    .sgpr_spill_count: 0
    .symbol:         _Z6kernelI6reduceILN6hipcub20BlockReduceAlgorithmE1EEiLj256ELj2ELj100EEvPKT0_PS4_.kd
    .uniform_work_group_size: 1
    .uses_dynamic_stack: false
    .vgpr_count:     14
    .vgpr_spill_count: 0
    .wavefront_size: 32
    .workgroup_processor_mode: 1
  - .args:
      - .address_space:  global
        .offset:         0
        .size:           8
        .value_kind:     global_buffer
      - .address_space:  global
        .offset:         8
        .size:           8
        .value_kind:     global_buffer
      - .offset:         16
        .size:           4
        .value_kind:     hidden_block_count_x
      - .offset:         20
        .size:           4
        .value_kind:     hidden_block_count_y
      - .offset:         24
        .size:           4
        .value_kind:     hidden_block_count_z
      - .offset:         28
        .size:           2
        .value_kind:     hidden_group_size_x
      - .offset:         30
        .size:           2
        .value_kind:     hidden_group_size_y
      - .offset:         32
        .size:           2
        .value_kind:     hidden_group_size_z
      - .offset:         34
        .size:           2
        .value_kind:     hidden_remainder_x
      - .offset:         36
        .size:           2
        .value_kind:     hidden_remainder_y
      - .offset:         38
        .size:           2
        .value_kind:     hidden_remainder_z
      - .offset:         56
        .size:           8
        .value_kind:     hidden_global_offset_x
      - .offset:         64
        .size:           8
        .value_kind:     hidden_global_offset_y
      - .offset:         72
        .size:           8
        .value_kind:     hidden_global_offset_z
      - .offset:         80
        .size:           2
        .value_kind:     hidden_grid_dims
    .group_segment_fixed_size: 1024
    .kernarg_segment_align: 8
    .kernarg_segment_size: 272
    .language:       OpenCL C
    .language_version:
      - 2
      - 0
    .max_flat_workgroup_size: 256
    .name:           _Z6kernelI6reduceILN6hipcub20BlockReduceAlgorithmE1EEiLj256ELj3ELj100EEvPKT0_PS4_
    .private_segment_fixed_size: 0
    .sgpr_count:     18
    .sgpr_spill_count: 0
    .symbol:         _Z6kernelI6reduceILN6hipcub20BlockReduceAlgorithmE1EEiLj256ELj3ELj100EEvPKT0_PS4_.kd
    .uniform_work_group_size: 1
    .uses_dynamic_stack: false
    .vgpr_count:     15
    .vgpr_spill_count: 0
    .wavefront_size: 32
    .workgroup_processor_mode: 1
  - .args:
      - .address_space:  global
        .offset:         0
        .size:           8
        .value_kind:     global_buffer
      - .address_space:  global
        .offset:         8
        .size:           8
        .value_kind:     global_buffer
      - .offset:         16
        .size:           4
        .value_kind:     hidden_block_count_x
      - .offset:         20
        .size:           4
        .value_kind:     hidden_block_count_y
      - .offset:         24
        .size:           4
        .value_kind:     hidden_block_count_z
      - .offset:         28
        .size:           2
        .value_kind:     hidden_group_size_x
      - .offset:         30
        .size:           2
        .value_kind:     hidden_group_size_y
      - .offset:         32
        .size:           2
        .value_kind:     hidden_group_size_z
      - .offset:         34
        .size:           2
        .value_kind:     hidden_remainder_x
      - .offset:         36
        .size:           2
        .value_kind:     hidden_remainder_y
      - .offset:         38
        .size:           2
        .value_kind:     hidden_remainder_z
      - .offset:         56
        .size:           8
        .value_kind:     hidden_global_offset_x
      - .offset:         64
        .size:           8
        .value_kind:     hidden_global_offset_y
      - .offset:         72
        .size:           8
        .value_kind:     hidden_global_offset_z
      - .offset:         80
        .size:           2
        .value_kind:     hidden_grid_dims
    .group_segment_fixed_size: 1024
    .kernarg_segment_align: 8
    .kernarg_segment_size: 272
    .language:       OpenCL C
    .language_version:
      - 2
      - 0
    .max_flat_workgroup_size: 256
    .name:           _Z6kernelI6reduceILN6hipcub20BlockReduceAlgorithmE1EEiLj256ELj4ELj100EEvPKT0_PS4_
    .private_segment_fixed_size: 0
    .sgpr_count:     18
    .sgpr_spill_count: 0
    .symbol:         _Z6kernelI6reduceILN6hipcub20BlockReduceAlgorithmE1EEiLj256ELj4ELj100EEvPKT0_PS4_.kd
    .uniform_work_group_size: 1
    .uses_dynamic_stack: false
    .vgpr_count:     16
    .vgpr_spill_count: 0
    .wavefront_size: 32
    .workgroup_processor_mode: 1
  - .args:
      - .address_space:  global
        .offset:         0
        .size:           8
        .value_kind:     global_buffer
      - .address_space:  global
        .offset:         8
        .size:           8
        .value_kind:     global_buffer
      - .offset:         16
        .size:           4
        .value_kind:     hidden_block_count_x
      - .offset:         20
        .size:           4
        .value_kind:     hidden_block_count_y
      - .offset:         24
        .size:           4
        .value_kind:     hidden_block_count_z
      - .offset:         28
        .size:           2
        .value_kind:     hidden_group_size_x
      - .offset:         30
        .size:           2
        .value_kind:     hidden_group_size_y
      - .offset:         32
        .size:           2
        .value_kind:     hidden_group_size_z
      - .offset:         34
        .size:           2
        .value_kind:     hidden_remainder_x
      - .offset:         36
        .size:           2
        .value_kind:     hidden_remainder_y
      - .offset:         38
        .size:           2
        .value_kind:     hidden_remainder_z
      - .offset:         56
        .size:           8
        .value_kind:     hidden_global_offset_x
      - .offset:         64
        .size:           8
        .value_kind:     hidden_global_offset_y
      - .offset:         72
        .size:           8
        .value_kind:     hidden_global_offset_z
      - .offset:         80
        .size:           2
        .value_kind:     hidden_grid_dims
    .group_segment_fixed_size: 1024
    .kernarg_segment_align: 8
    .kernarg_segment_size: 272
    .language:       OpenCL C
    .language_version:
      - 2
      - 0
    .max_flat_workgroup_size: 256
    .name:           _Z6kernelI6reduceILN6hipcub20BlockReduceAlgorithmE1EEiLj256ELj8ELj100EEvPKT0_PS4_
    .private_segment_fixed_size: 0
    .sgpr_count:     18
    .sgpr_spill_count: 0
    .symbol:         _Z6kernelI6reduceILN6hipcub20BlockReduceAlgorithmE1EEiLj256ELj8ELj100EEvPKT0_PS4_.kd
    .uniform_work_group_size: 1
    .uses_dynamic_stack: false
    .vgpr_count:     20
    .vgpr_spill_count: 0
    .wavefront_size: 32
    .workgroup_processor_mode: 1
  - .args:
      - .address_space:  global
        .offset:         0
        .size:           8
        .value_kind:     global_buffer
      - .address_space:  global
        .offset:         8
        .size:           8
        .value_kind:     global_buffer
      - .offset:         16
        .size:           4
        .value_kind:     hidden_block_count_x
      - .offset:         20
        .size:           4
        .value_kind:     hidden_block_count_y
      - .offset:         24
        .size:           4
        .value_kind:     hidden_block_count_z
      - .offset:         28
        .size:           2
        .value_kind:     hidden_group_size_x
      - .offset:         30
        .size:           2
        .value_kind:     hidden_group_size_y
      - .offset:         32
        .size:           2
        .value_kind:     hidden_group_size_z
      - .offset:         34
        .size:           2
        .value_kind:     hidden_remainder_x
      - .offset:         36
        .size:           2
        .value_kind:     hidden_remainder_y
      - .offset:         38
        .size:           2
        .value_kind:     hidden_remainder_z
      - .offset:         56
        .size:           8
        .value_kind:     hidden_global_offset_x
      - .offset:         64
        .size:           8
        .value_kind:     hidden_global_offset_y
      - .offset:         72
        .size:           8
        .value_kind:     hidden_global_offset_z
      - .offset:         80
        .size:           2
        .value_kind:     hidden_grid_dims
    .group_segment_fixed_size: 1024
    .kernarg_segment_align: 8
    .kernarg_segment_size: 272
    .language:       OpenCL C
    .language_version:
      - 2
      - 0
    .max_flat_workgroup_size: 256
    .name:           _Z6kernelI6reduceILN6hipcub20BlockReduceAlgorithmE1EEiLj256ELj11ELj100EEvPKT0_PS4_
    .private_segment_fixed_size: 0
    .sgpr_count:     18
    .sgpr_spill_count: 0
    .symbol:         _Z6kernelI6reduceILN6hipcub20BlockReduceAlgorithmE1EEiLj256ELj11ELj100EEvPKT0_PS4_.kd
    .uniform_work_group_size: 1
    .uses_dynamic_stack: false
    .vgpr_count:     24
    .vgpr_spill_count: 0
    .wavefront_size: 32
    .workgroup_processor_mode: 1
  - .args:
      - .address_space:  global
        .offset:         0
        .size:           8
        .value_kind:     global_buffer
      - .address_space:  global
        .offset:         8
        .size:           8
        .value_kind:     global_buffer
      - .offset:         16
        .size:           4
        .value_kind:     hidden_block_count_x
      - .offset:         20
        .size:           4
        .value_kind:     hidden_block_count_y
      - .offset:         24
        .size:           4
        .value_kind:     hidden_block_count_z
      - .offset:         28
        .size:           2
        .value_kind:     hidden_group_size_x
      - .offset:         30
        .size:           2
        .value_kind:     hidden_group_size_y
      - .offset:         32
        .size:           2
        .value_kind:     hidden_group_size_z
      - .offset:         34
        .size:           2
        .value_kind:     hidden_remainder_x
      - .offset:         36
        .size:           2
        .value_kind:     hidden_remainder_y
      - .offset:         38
        .size:           2
        .value_kind:     hidden_remainder_z
      - .offset:         56
        .size:           8
        .value_kind:     hidden_global_offset_x
      - .offset:         64
        .size:           8
        .value_kind:     hidden_global_offset_y
      - .offset:         72
        .size:           8
        .value_kind:     hidden_global_offset_z
      - .offset:         80
        .size:           2
        .value_kind:     hidden_grid_dims
    .group_segment_fixed_size: 1024
    .kernarg_segment_align: 8
    .kernarg_segment_size: 272
    .language:       OpenCL C
    .language_version:
      - 2
      - 0
    .max_flat_workgroup_size: 256
    .name:           _Z6kernelI6reduceILN6hipcub20BlockReduceAlgorithmE1EEiLj256ELj16ELj100EEvPKT0_PS4_
    .private_segment_fixed_size: 0
    .sgpr_count:     18
    .sgpr_spill_count: 0
    .symbol:         _Z6kernelI6reduceILN6hipcub20BlockReduceAlgorithmE1EEiLj256ELj16ELj100EEvPKT0_PS4_.kd
    .uniform_work_group_size: 1
    .uses_dynamic_stack: false
    .vgpr_count:     17
    .vgpr_spill_count: 0
    .wavefront_size: 32
    .workgroup_processor_mode: 1
  - .args:
      - .address_space:  global
        .offset:         0
        .size:           8
        .value_kind:     global_buffer
      - .address_space:  global
        .offset:         8
        .size:           8
        .value_kind:     global_buffer
      - .offset:         16
        .size:           4
        .value_kind:     hidden_block_count_x
      - .offset:         20
        .size:           4
        .value_kind:     hidden_block_count_y
      - .offset:         24
        .size:           4
        .value_kind:     hidden_block_count_z
      - .offset:         28
        .size:           2
        .value_kind:     hidden_group_size_x
      - .offset:         30
        .size:           2
        .value_kind:     hidden_group_size_y
      - .offset:         32
        .size:           2
        .value_kind:     hidden_group_size_z
      - .offset:         34
        .size:           2
        .value_kind:     hidden_remainder_x
      - .offset:         36
        .size:           2
        .value_kind:     hidden_remainder_y
      - .offset:         38
        .size:           2
        .value_kind:     hidden_remainder_z
      - .offset:         56
        .size:           8
        .value_kind:     hidden_global_offset_x
      - .offset:         64
        .size:           8
        .value_kind:     hidden_global_offset_y
      - .offset:         72
        .size:           8
        .value_kind:     hidden_global_offset_z
      - .offset:         80
        .size:           2
        .value_kind:     hidden_grid_dims
    .group_segment_fixed_size: 1024
    .kernarg_segment_align: 8
    .kernarg_segment_size: 272
    .language:       OpenCL C
    .language_version:
      - 2
      - 0
    .max_flat_workgroup_size: 256
    .name:           _Z6kernelI6reduceILN6hipcub20BlockReduceAlgorithmE1EEfLj256ELj1ELj100EEvPKT0_PS4_
    .private_segment_fixed_size: 0
    .sgpr_count:     18
    .sgpr_spill_count: 0
    .symbol:         _Z6kernelI6reduceILN6hipcub20BlockReduceAlgorithmE1EEfLj256ELj1ELj100EEvPKT0_PS4_.kd
    .uniform_work_group_size: 1
    .uses_dynamic_stack: false
    .vgpr_count:     12
    .vgpr_spill_count: 0
    .wavefront_size: 32
    .workgroup_processor_mode: 1
  - .args:
      - .address_space:  global
        .offset:         0
        .size:           8
        .value_kind:     global_buffer
      - .address_space:  global
        .offset:         8
        .size:           8
        .value_kind:     global_buffer
      - .offset:         16
        .size:           4
        .value_kind:     hidden_block_count_x
      - .offset:         20
        .size:           4
        .value_kind:     hidden_block_count_y
      - .offset:         24
        .size:           4
        .value_kind:     hidden_block_count_z
      - .offset:         28
        .size:           2
        .value_kind:     hidden_group_size_x
      - .offset:         30
        .size:           2
        .value_kind:     hidden_group_size_y
      - .offset:         32
        .size:           2
        .value_kind:     hidden_group_size_z
      - .offset:         34
        .size:           2
        .value_kind:     hidden_remainder_x
      - .offset:         36
        .size:           2
        .value_kind:     hidden_remainder_y
      - .offset:         38
        .size:           2
        .value_kind:     hidden_remainder_z
      - .offset:         56
        .size:           8
        .value_kind:     hidden_global_offset_x
      - .offset:         64
        .size:           8
        .value_kind:     hidden_global_offset_y
      - .offset:         72
        .size:           8
        .value_kind:     hidden_global_offset_z
      - .offset:         80
        .size:           2
        .value_kind:     hidden_grid_dims
    .group_segment_fixed_size: 1024
    .kernarg_segment_align: 8
    .kernarg_segment_size: 272
    .language:       OpenCL C
    .language_version:
      - 2
      - 0
    .max_flat_workgroup_size: 256
    .name:           _Z6kernelI6reduceILN6hipcub20BlockReduceAlgorithmE1EEfLj256ELj2ELj100EEvPKT0_PS4_
    .private_segment_fixed_size: 0
    .sgpr_count:     18
    .sgpr_spill_count: 0
    .symbol:         _Z6kernelI6reduceILN6hipcub20BlockReduceAlgorithmE1EEfLj256ELj2ELj100EEvPKT0_PS4_.kd
    .uniform_work_group_size: 1
    .uses_dynamic_stack: false
    .vgpr_count:     14
    .vgpr_spill_count: 0
    .wavefront_size: 32
    .workgroup_processor_mode: 1
  - .args:
      - .address_space:  global
        .offset:         0
        .size:           8
        .value_kind:     global_buffer
      - .address_space:  global
        .offset:         8
        .size:           8
        .value_kind:     global_buffer
      - .offset:         16
        .size:           4
        .value_kind:     hidden_block_count_x
      - .offset:         20
        .size:           4
        .value_kind:     hidden_block_count_y
      - .offset:         24
        .size:           4
        .value_kind:     hidden_block_count_z
      - .offset:         28
        .size:           2
        .value_kind:     hidden_group_size_x
      - .offset:         30
        .size:           2
        .value_kind:     hidden_group_size_y
      - .offset:         32
        .size:           2
        .value_kind:     hidden_group_size_z
      - .offset:         34
        .size:           2
        .value_kind:     hidden_remainder_x
      - .offset:         36
        .size:           2
        .value_kind:     hidden_remainder_y
      - .offset:         38
        .size:           2
        .value_kind:     hidden_remainder_z
      - .offset:         56
        .size:           8
        .value_kind:     hidden_global_offset_x
      - .offset:         64
        .size:           8
        .value_kind:     hidden_global_offset_y
      - .offset:         72
        .size:           8
        .value_kind:     hidden_global_offset_z
      - .offset:         80
        .size:           2
        .value_kind:     hidden_grid_dims
    .group_segment_fixed_size: 1024
    .kernarg_segment_align: 8
    .kernarg_segment_size: 272
    .language:       OpenCL C
    .language_version:
      - 2
      - 0
    .max_flat_workgroup_size: 256
    .name:           _Z6kernelI6reduceILN6hipcub20BlockReduceAlgorithmE1EEfLj256ELj3ELj100EEvPKT0_PS4_
    .private_segment_fixed_size: 0
    .sgpr_count:     18
    .sgpr_spill_count: 0
    .symbol:         _Z6kernelI6reduceILN6hipcub20BlockReduceAlgorithmE1EEfLj256ELj3ELj100EEvPKT0_PS4_.kd
    .uniform_work_group_size: 1
    .uses_dynamic_stack: false
    .vgpr_count:     15
    .vgpr_spill_count: 0
    .wavefront_size: 32
    .workgroup_processor_mode: 1
  - .args:
      - .address_space:  global
        .offset:         0
        .size:           8
        .value_kind:     global_buffer
      - .address_space:  global
        .offset:         8
        .size:           8
        .value_kind:     global_buffer
      - .offset:         16
        .size:           4
        .value_kind:     hidden_block_count_x
      - .offset:         20
        .size:           4
        .value_kind:     hidden_block_count_y
      - .offset:         24
        .size:           4
        .value_kind:     hidden_block_count_z
      - .offset:         28
        .size:           2
        .value_kind:     hidden_group_size_x
      - .offset:         30
        .size:           2
        .value_kind:     hidden_group_size_y
      - .offset:         32
        .size:           2
        .value_kind:     hidden_group_size_z
      - .offset:         34
        .size:           2
        .value_kind:     hidden_remainder_x
      - .offset:         36
        .size:           2
        .value_kind:     hidden_remainder_y
      - .offset:         38
        .size:           2
        .value_kind:     hidden_remainder_z
      - .offset:         56
        .size:           8
        .value_kind:     hidden_global_offset_x
      - .offset:         64
        .size:           8
        .value_kind:     hidden_global_offset_y
      - .offset:         72
        .size:           8
        .value_kind:     hidden_global_offset_z
      - .offset:         80
        .size:           2
        .value_kind:     hidden_grid_dims
    .group_segment_fixed_size: 1024
    .kernarg_segment_align: 8
    .kernarg_segment_size: 272
    .language:       OpenCL C
    .language_version:
      - 2
      - 0
    .max_flat_workgroup_size: 256
    .name:           _Z6kernelI6reduceILN6hipcub20BlockReduceAlgorithmE1EEfLj256ELj4ELj100EEvPKT0_PS4_
    .private_segment_fixed_size: 0
    .sgpr_count:     18
    .sgpr_spill_count: 0
    .symbol:         _Z6kernelI6reduceILN6hipcub20BlockReduceAlgorithmE1EEfLj256ELj4ELj100EEvPKT0_PS4_.kd
    .uniform_work_group_size: 1
    .uses_dynamic_stack: false
    .vgpr_count:     16
    .vgpr_spill_count: 0
    .wavefront_size: 32
    .workgroup_processor_mode: 1
  - .args:
      - .address_space:  global
        .offset:         0
        .size:           8
        .value_kind:     global_buffer
      - .address_space:  global
        .offset:         8
        .size:           8
        .value_kind:     global_buffer
      - .offset:         16
        .size:           4
        .value_kind:     hidden_block_count_x
      - .offset:         20
        .size:           4
        .value_kind:     hidden_block_count_y
      - .offset:         24
        .size:           4
        .value_kind:     hidden_block_count_z
      - .offset:         28
        .size:           2
        .value_kind:     hidden_group_size_x
      - .offset:         30
        .size:           2
        .value_kind:     hidden_group_size_y
      - .offset:         32
        .size:           2
        .value_kind:     hidden_group_size_z
      - .offset:         34
        .size:           2
        .value_kind:     hidden_remainder_x
      - .offset:         36
        .size:           2
        .value_kind:     hidden_remainder_y
      - .offset:         38
        .size:           2
        .value_kind:     hidden_remainder_z
      - .offset:         56
        .size:           8
        .value_kind:     hidden_global_offset_x
      - .offset:         64
        .size:           8
        .value_kind:     hidden_global_offset_y
      - .offset:         72
        .size:           8
        .value_kind:     hidden_global_offset_z
      - .offset:         80
        .size:           2
        .value_kind:     hidden_grid_dims
    .group_segment_fixed_size: 1024
    .kernarg_segment_align: 8
    .kernarg_segment_size: 272
    .language:       OpenCL C
    .language_version:
      - 2
      - 0
    .max_flat_workgroup_size: 256
    .name:           _Z6kernelI6reduceILN6hipcub20BlockReduceAlgorithmE1EEfLj256ELj8ELj100EEvPKT0_PS4_
    .private_segment_fixed_size: 0
    .sgpr_count:     18
    .sgpr_spill_count: 0
    .symbol:         _Z6kernelI6reduceILN6hipcub20BlockReduceAlgorithmE1EEfLj256ELj8ELj100EEvPKT0_PS4_.kd
    .uniform_work_group_size: 1
    .uses_dynamic_stack: false
    .vgpr_count:     20
    .vgpr_spill_count: 0
    .wavefront_size: 32
    .workgroup_processor_mode: 1
  - .args:
      - .address_space:  global
        .offset:         0
        .size:           8
        .value_kind:     global_buffer
      - .address_space:  global
        .offset:         8
        .size:           8
        .value_kind:     global_buffer
      - .offset:         16
        .size:           4
        .value_kind:     hidden_block_count_x
      - .offset:         20
        .size:           4
        .value_kind:     hidden_block_count_y
      - .offset:         24
        .size:           4
        .value_kind:     hidden_block_count_z
      - .offset:         28
        .size:           2
        .value_kind:     hidden_group_size_x
      - .offset:         30
        .size:           2
        .value_kind:     hidden_group_size_y
      - .offset:         32
        .size:           2
        .value_kind:     hidden_group_size_z
      - .offset:         34
        .size:           2
        .value_kind:     hidden_remainder_x
      - .offset:         36
        .size:           2
        .value_kind:     hidden_remainder_y
      - .offset:         38
        .size:           2
        .value_kind:     hidden_remainder_z
      - .offset:         56
        .size:           8
        .value_kind:     hidden_global_offset_x
      - .offset:         64
        .size:           8
        .value_kind:     hidden_global_offset_y
      - .offset:         72
        .size:           8
        .value_kind:     hidden_global_offset_z
      - .offset:         80
        .size:           2
        .value_kind:     hidden_grid_dims
    .group_segment_fixed_size: 1024
    .kernarg_segment_align: 8
    .kernarg_segment_size: 272
    .language:       OpenCL C
    .language_version:
      - 2
      - 0
    .max_flat_workgroup_size: 256
    .name:           _Z6kernelI6reduceILN6hipcub20BlockReduceAlgorithmE1EEfLj256ELj11ELj100EEvPKT0_PS4_
    .private_segment_fixed_size: 0
    .sgpr_count:     18
    .sgpr_spill_count: 0
    .symbol:         _Z6kernelI6reduceILN6hipcub20BlockReduceAlgorithmE1EEfLj256ELj11ELj100EEvPKT0_PS4_.kd
    .uniform_work_group_size: 1
    .uses_dynamic_stack: false
    .vgpr_count:     27
    .vgpr_spill_count: 0
    .wavefront_size: 32
    .workgroup_processor_mode: 1
  - .args:
      - .address_space:  global
        .offset:         0
        .size:           8
        .value_kind:     global_buffer
      - .address_space:  global
        .offset:         8
        .size:           8
        .value_kind:     global_buffer
      - .offset:         16
        .size:           4
        .value_kind:     hidden_block_count_x
      - .offset:         20
        .size:           4
        .value_kind:     hidden_block_count_y
      - .offset:         24
        .size:           4
        .value_kind:     hidden_block_count_z
      - .offset:         28
        .size:           2
        .value_kind:     hidden_group_size_x
      - .offset:         30
        .size:           2
        .value_kind:     hidden_group_size_y
      - .offset:         32
        .size:           2
        .value_kind:     hidden_group_size_z
      - .offset:         34
        .size:           2
        .value_kind:     hidden_remainder_x
      - .offset:         36
        .size:           2
        .value_kind:     hidden_remainder_y
      - .offset:         38
        .size:           2
        .value_kind:     hidden_remainder_z
      - .offset:         56
        .size:           8
        .value_kind:     hidden_global_offset_x
      - .offset:         64
        .size:           8
        .value_kind:     hidden_global_offset_y
      - .offset:         72
        .size:           8
        .value_kind:     hidden_global_offset_z
      - .offset:         80
        .size:           2
        .value_kind:     hidden_grid_dims
    .group_segment_fixed_size: 1024
    .kernarg_segment_align: 8
    .kernarg_segment_size: 272
    .language:       OpenCL C
    .language_version:
      - 2
      - 0
    .max_flat_workgroup_size: 256
    .name:           _Z6kernelI6reduceILN6hipcub20BlockReduceAlgorithmE1EEfLj256ELj16ELj100EEvPKT0_PS4_
    .private_segment_fixed_size: 0
    .sgpr_count:     18
    .sgpr_spill_count: 0
    .symbol:         _Z6kernelI6reduceILN6hipcub20BlockReduceAlgorithmE1EEfLj256ELj16ELj100EEvPKT0_PS4_.kd
    .uniform_work_group_size: 1
    .uses_dynamic_stack: false
    .vgpr_count:     28
    .vgpr_spill_count: 0
    .wavefront_size: 32
    .workgroup_processor_mode: 1
  - .args:
      - .address_space:  global
        .offset:         0
        .size:           8
        .value_kind:     global_buffer
      - .address_space:  global
        .offset:         8
        .size:           8
        .value_kind:     global_buffer
      - .offset:         16
        .size:           4
        .value_kind:     hidden_block_count_x
      - .offset:         20
        .size:           4
        .value_kind:     hidden_block_count_y
      - .offset:         24
        .size:           4
        .value_kind:     hidden_block_count_z
      - .offset:         28
        .size:           2
        .value_kind:     hidden_group_size_x
      - .offset:         30
        .size:           2
        .value_kind:     hidden_group_size_y
      - .offset:         32
        .size:           2
        .value_kind:     hidden_group_size_z
      - .offset:         34
        .size:           2
        .value_kind:     hidden_remainder_x
      - .offset:         36
        .size:           2
        .value_kind:     hidden_remainder_y
      - .offset:         38
        .size:           2
        .value_kind:     hidden_remainder_z
      - .offset:         56
        .size:           8
        .value_kind:     hidden_global_offset_x
      - .offset:         64
        .size:           8
        .value_kind:     hidden_global_offset_y
      - .offset:         72
        .size:           8
        .value_kind:     hidden_global_offset_z
      - .offset:         80
        .size:           2
        .value_kind:     hidden_grid_dims
    .group_segment_fixed_size: 2048
    .kernarg_segment_align: 8
    .kernarg_segment_size: 272
    .language:       OpenCL C
    .language_version:
      - 2
      - 0
    .max_flat_workgroup_size: 256
    .name:           _Z6kernelI6reduceILN6hipcub20BlockReduceAlgorithmE1EEdLj256ELj1ELj100EEvPKT0_PS4_
    .private_segment_fixed_size: 0
    .sgpr_count:     18
    .sgpr_spill_count: 0
    .symbol:         _Z6kernelI6reduceILN6hipcub20BlockReduceAlgorithmE1EEdLj256ELj1ELj100EEvPKT0_PS4_.kd
    .uniform_work_group_size: 1
    .uses_dynamic_stack: false
    .vgpr_count:     22
    .vgpr_spill_count: 0
    .wavefront_size: 32
    .workgroup_processor_mode: 1
  - .args:
      - .address_space:  global
        .offset:         0
        .size:           8
        .value_kind:     global_buffer
      - .address_space:  global
        .offset:         8
        .size:           8
        .value_kind:     global_buffer
      - .offset:         16
        .size:           4
        .value_kind:     hidden_block_count_x
      - .offset:         20
        .size:           4
        .value_kind:     hidden_block_count_y
      - .offset:         24
        .size:           4
        .value_kind:     hidden_block_count_z
      - .offset:         28
        .size:           2
        .value_kind:     hidden_group_size_x
      - .offset:         30
        .size:           2
        .value_kind:     hidden_group_size_y
      - .offset:         32
        .size:           2
        .value_kind:     hidden_group_size_z
      - .offset:         34
        .size:           2
        .value_kind:     hidden_remainder_x
      - .offset:         36
        .size:           2
        .value_kind:     hidden_remainder_y
      - .offset:         38
        .size:           2
        .value_kind:     hidden_remainder_z
      - .offset:         56
        .size:           8
        .value_kind:     hidden_global_offset_x
      - .offset:         64
        .size:           8
        .value_kind:     hidden_global_offset_y
      - .offset:         72
        .size:           8
        .value_kind:     hidden_global_offset_z
      - .offset:         80
        .size:           2
        .value_kind:     hidden_grid_dims
    .group_segment_fixed_size: 2048
    .kernarg_segment_align: 8
    .kernarg_segment_size: 272
    .language:       OpenCL C
    .language_version:
      - 2
      - 0
    .max_flat_workgroup_size: 256
    .name:           _Z6kernelI6reduceILN6hipcub20BlockReduceAlgorithmE1EEdLj256ELj2ELj100EEvPKT0_PS4_
    .private_segment_fixed_size: 0
    .sgpr_count:     18
    .sgpr_spill_count: 0
    .symbol:         _Z6kernelI6reduceILN6hipcub20BlockReduceAlgorithmE1EEdLj256ELj2ELj100EEvPKT0_PS4_.kd
    .uniform_work_group_size: 1
    .uses_dynamic_stack: false
    .vgpr_count:     24
    .vgpr_spill_count: 0
    .wavefront_size: 32
    .workgroup_processor_mode: 1
  - .args:
      - .address_space:  global
        .offset:         0
        .size:           8
        .value_kind:     global_buffer
      - .address_space:  global
        .offset:         8
        .size:           8
        .value_kind:     global_buffer
      - .offset:         16
        .size:           4
        .value_kind:     hidden_block_count_x
      - .offset:         20
        .size:           4
        .value_kind:     hidden_block_count_y
      - .offset:         24
        .size:           4
        .value_kind:     hidden_block_count_z
      - .offset:         28
        .size:           2
        .value_kind:     hidden_group_size_x
      - .offset:         30
        .size:           2
        .value_kind:     hidden_group_size_y
      - .offset:         32
        .size:           2
        .value_kind:     hidden_group_size_z
      - .offset:         34
        .size:           2
        .value_kind:     hidden_remainder_x
      - .offset:         36
        .size:           2
        .value_kind:     hidden_remainder_y
      - .offset:         38
        .size:           2
        .value_kind:     hidden_remainder_z
      - .offset:         56
        .size:           8
        .value_kind:     hidden_global_offset_x
      - .offset:         64
        .size:           8
        .value_kind:     hidden_global_offset_y
      - .offset:         72
        .size:           8
        .value_kind:     hidden_global_offset_z
      - .offset:         80
        .size:           2
        .value_kind:     hidden_grid_dims
    .group_segment_fixed_size: 2048
    .kernarg_segment_align: 8
    .kernarg_segment_size: 272
    .language:       OpenCL C
    .language_version:
      - 2
      - 0
    .max_flat_workgroup_size: 256
    .name:           _Z6kernelI6reduceILN6hipcub20BlockReduceAlgorithmE1EEdLj256ELj3ELj100EEvPKT0_PS4_
    .private_segment_fixed_size: 0
    .sgpr_count:     18
    .sgpr_spill_count: 0
    .symbol:         _Z6kernelI6reduceILN6hipcub20BlockReduceAlgorithmE1EEdLj256ELj3ELj100EEvPKT0_PS4_.kd
    .uniform_work_group_size: 1
    .uses_dynamic_stack: false
    .vgpr_count:     26
    .vgpr_spill_count: 0
    .wavefront_size: 32
    .workgroup_processor_mode: 1
  - .args:
      - .address_space:  global
        .offset:         0
        .size:           8
        .value_kind:     global_buffer
      - .address_space:  global
        .offset:         8
        .size:           8
        .value_kind:     global_buffer
      - .offset:         16
        .size:           4
        .value_kind:     hidden_block_count_x
      - .offset:         20
        .size:           4
        .value_kind:     hidden_block_count_y
      - .offset:         24
        .size:           4
        .value_kind:     hidden_block_count_z
      - .offset:         28
        .size:           2
        .value_kind:     hidden_group_size_x
      - .offset:         30
        .size:           2
        .value_kind:     hidden_group_size_y
      - .offset:         32
        .size:           2
        .value_kind:     hidden_group_size_z
      - .offset:         34
        .size:           2
        .value_kind:     hidden_remainder_x
      - .offset:         36
        .size:           2
        .value_kind:     hidden_remainder_y
      - .offset:         38
        .size:           2
        .value_kind:     hidden_remainder_z
      - .offset:         56
        .size:           8
        .value_kind:     hidden_global_offset_x
      - .offset:         64
        .size:           8
        .value_kind:     hidden_global_offset_y
      - .offset:         72
        .size:           8
        .value_kind:     hidden_global_offset_z
      - .offset:         80
        .size:           2
        .value_kind:     hidden_grid_dims
    .group_segment_fixed_size: 2048
    .kernarg_segment_align: 8
    .kernarg_segment_size: 272
    .language:       OpenCL C
    .language_version:
      - 2
      - 0
    .max_flat_workgroup_size: 256
    .name:           _Z6kernelI6reduceILN6hipcub20BlockReduceAlgorithmE1EEdLj256ELj4ELj100EEvPKT0_PS4_
    .private_segment_fixed_size: 0
    .sgpr_count:     18
    .sgpr_spill_count: 0
    .symbol:         _Z6kernelI6reduceILN6hipcub20BlockReduceAlgorithmE1EEdLj256ELj4ELj100EEvPKT0_PS4_.kd
    .uniform_work_group_size: 1
    .uses_dynamic_stack: false
    .vgpr_count:     28
    .vgpr_spill_count: 0
    .wavefront_size: 32
    .workgroup_processor_mode: 1
  - .args:
      - .address_space:  global
        .offset:         0
        .size:           8
        .value_kind:     global_buffer
      - .address_space:  global
        .offset:         8
        .size:           8
        .value_kind:     global_buffer
      - .offset:         16
        .size:           4
        .value_kind:     hidden_block_count_x
      - .offset:         20
        .size:           4
        .value_kind:     hidden_block_count_y
      - .offset:         24
        .size:           4
        .value_kind:     hidden_block_count_z
      - .offset:         28
        .size:           2
        .value_kind:     hidden_group_size_x
      - .offset:         30
        .size:           2
        .value_kind:     hidden_group_size_y
      - .offset:         32
        .size:           2
        .value_kind:     hidden_group_size_z
      - .offset:         34
        .size:           2
        .value_kind:     hidden_remainder_x
      - .offset:         36
        .size:           2
        .value_kind:     hidden_remainder_y
      - .offset:         38
        .size:           2
        .value_kind:     hidden_remainder_z
      - .offset:         56
        .size:           8
        .value_kind:     hidden_global_offset_x
      - .offset:         64
        .size:           8
        .value_kind:     hidden_global_offset_y
      - .offset:         72
        .size:           8
        .value_kind:     hidden_global_offset_z
      - .offset:         80
        .size:           2
        .value_kind:     hidden_grid_dims
    .group_segment_fixed_size: 2048
    .kernarg_segment_align: 8
    .kernarg_segment_size: 272
    .language:       OpenCL C
    .language_version:
      - 2
      - 0
    .max_flat_workgroup_size: 256
    .name:           _Z6kernelI6reduceILN6hipcub20BlockReduceAlgorithmE1EEdLj256ELj8ELj100EEvPKT0_PS4_
    .private_segment_fixed_size: 0
    .sgpr_count:     18
    .sgpr_spill_count: 0
    .symbol:         _Z6kernelI6reduceILN6hipcub20BlockReduceAlgorithmE1EEdLj256ELj8ELj100EEvPKT0_PS4_.kd
    .uniform_work_group_size: 1
    .uses_dynamic_stack: false
    .vgpr_count:     36
    .vgpr_spill_count: 0
    .wavefront_size: 32
    .workgroup_processor_mode: 1
  - .args:
      - .address_space:  global
        .offset:         0
        .size:           8
        .value_kind:     global_buffer
      - .address_space:  global
        .offset:         8
        .size:           8
        .value_kind:     global_buffer
      - .offset:         16
        .size:           4
        .value_kind:     hidden_block_count_x
      - .offset:         20
        .size:           4
        .value_kind:     hidden_block_count_y
      - .offset:         24
        .size:           4
        .value_kind:     hidden_block_count_z
      - .offset:         28
        .size:           2
        .value_kind:     hidden_group_size_x
      - .offset:         30
        .size:           2
        .value_kind:     hidden_group_size_y
      - .offset:         32
        .size:           2
        .value_kind:     hidden_group_size_z
      - .offset:         34
        .size:           2
        .value_kind:     hidden_remainder_x
      - .offset:         36
        .size:           2
        .value_kind:     hidden_remainder_y
      - .offset:         38
        .size:           2
        .value_kind:     hidden_remainder_z
      - .offset:         56
        .size:           8
        .value_kind:     hidden_global_offset_x
      - .offset:         64
        .size:           8
        .value_kind:     hidden_global_offset_y
      - .offset:         72
        .size:           8
        .value_kind:     hidden_global_offset_z
      - .offset:         80
        .size:           2
        .value_kind:     hidden_grid_dims
    .group_segment_fixed_size: 2048
    .kernarg_segment_align: 8
    .kernarg_segment_size: 272
    .language:       OpenCL C
    .language_version:
      - 2
      - 0
    .max_flat_workgroup_size: 256
    .name:           _Z6kernelI6reduceILN6hipcub20BlockReduceAlgorithmE1EEdLj256ELj11ELj100EEvPKT0_PS4_
    .private_segment_fixed_size: 0
    .sgpr_count:     18
    .sgpr_spill_count: 0
    .symbol:         _Z6kernelI6reduceILN6hipcub20BlockReduceAlgorithmE1EEdLj256ELj11ELj100EEvPKT0_PS4_.kd
    .uniform_work_group_size: 1
    .uses_dynamic_stack: false
    .vgpr_count:     42
    .vgpr_spill_count: 0
    .wavefront_size: 32
    .workgroup_processor_mode: 1
  - .args:
      - .address_space:  global
        .offset:         0
        .size:           8
        .value_kind:     global_buffer
      - .address_space:  global
        .offset:         8
        .size:           8
        .value_kind:     global_buffer
      - .offset:         16
        .size:           4
        .value_kind:     hidden_block_count_x
      - .offset:         20
        .size:           4
        .value_kind:     hidden_block_count_y
      - .offset:         24
        .size:           4
        .value_kind:     hidden_block_count_z
      - .offset:         28
        .size:           2
        .value_kind:     hidden_group_size_x
      - .offset:         30
        .size:           2
        .value_kind:     hidden_group_size_y
      - .offset:         32
        .size:           2
        .value_kind:     hidden_group_size_z
      - .offset:         34
        .size:           2
        .value_kind:     hidden_remainder_x
      - .offset:         36
        .size:           2
        .value_kind:     hidden_remainder_y
      - .offset:         38
        .size:           2
        .value_kind:     hidden_remainder_z
      - .offset:         56
        .size:           8
        .value_kind:     hidden_global_offset_x
      - .offset:         64
        .size:           8
        .value_kind:     hidden_global_offset_y
      - .offset:         72
        .size:           8
        .value_kind:     hidden_global_offset_z
      - .offset:         80
        .size:           2
        .value_kind:     hidden_grid_dims
    .group_segment_fixed_size: 2048
    .kernarg_segment_align: 8
    .kernarg_segment_size: 272
    .language:       OpenCL C
    .language_version:
      - 2
      - 0
    .max_flat_workgroup_size: 256
    .name:           _Z6kernelI6reduceILN6hipcub20BlockReduceAlgorithmE1EEdLj256ELj16ELj100EEvPKT0_PS4_
    .private_segment_fixed_size: 0
    .sgpr_count:     18
    .sgpr_spill_count: 0
    .symbol:         _Z6kernelI6reduceILN6hipcub20BlockReduceAlgorithmE1EEdLj256ELj16ELj100EEvPKT0_PS4_.kd
    .uniform_work_group_size: 1
    .uses_dynamic_stack: false
    .vgpr_count:     52
    .vgpr_spill_count: 0
    .wavefront_size: 32
    .workgroup_processor_mode: 1
  - .args:
      - .address_space:  global
        .offset:         0
        .size:           8
        .value_kind:     global_buffer
      - .address_space:  global
        .offset:         8
        .size:           8
        .value_kind:     global_buffer
      - .offset:         16
        .size:           4
        .value_kind:     hidden_block_count_x
      - .offset:         20
        .size:           4
        .value_kind:     hidden_block_count_y
      - .offset:         24
        .size:           4
        .value_kind:     hidden_block_count_z
      - .offset:         28
        .size:           2
        .value_kind:     hidden_group_size_x
      - .offset:         30
        .size:           2
        .value_kind:     hidden_group_size_y
      - .offset:         32
        .size:           2
        .value_kind:     hidden_group_size_z
      - .offset:         34
        .size:           2
        .value_kind:     hidden_remainder_x
      - .offset:         36
        .size:           2
        .value_kind:     hidden_remainder_y
      - .offset:         38
        .size:           2
        .value_kind:     hidden_remainder_z
      - .offset:         56
        .size:           8
        .value_kind:     hidden_global_offset_x
      - .offset:         64
        .size:           8
        .value_kind:     hidden_global_offset_y
      - .offset:         72
        .size:           8
        .value_kind:     hidden_global_offset_z
      - .offset:         80
        .size:           2
        .value_kind:     hidden_grid_dims
    .group_segment_fixed_size: 256
    .kernarg_segment_align: 8
    .kernarg_segment_size: 272
    .language:       OpenCL C
    .language_version:
      - 2
      - 0
    .max_flat_workgroup_size: 256
    .name:           _Z6kernelI6reduceILN6hipcub20BlockReduceAlgorithmE1EEaLj256ELj1ELj100EEvPKT0_PS4_
    .private_segment_fixed_size: 0
    .sgpr_count:     16
    .sgpr_spill_count: 0
    .symbol:         _Z6kernelI6reduceILN6hipcub20BlockReduceAlgorithmE1EEaLj256ELj1ELj100EEvPKT0_PS4_.kd
    .uniform_work_group_size: 1
    .uses_dynamic_stack: false
    .vgpr_count:     7
    .vgpr_spill_count: 0
    .wavefront_size: 32
    .workgroup_processor_mode: 1
  - .args:
      - .address_space:  global
        .offset:         0
        .size:           8
        .value_kind:     global_buffer
      - .address_space:  global
        .offset:         8
        .size:           8
        .value_kind:     global_buffer
      - .offset:         16
        .size:           4
        .value_kind:     hidden_block_count_x
      - .offset:         20
        .size:           4
        .value_kind:     hidden_block_count_y
      - .offset:         24
        .size:           4
        .value_kind:     hidden_block_count_z
      - .offset:         28
        .size:           2
        .value_kind:     hidden_group_size_x
      - .offset:         30
        .size:           2
        .value_kind:     hidden_group_size_y
      - .offset:         32
        .size:           2
        .value_kind:     hidden_group_size_z
      - .offset:         34
        .size:           2
        .value_kind:     hidden_remainder_x
      - .offset:         36
        .size:           2
        .value_kind:     hidden_remainder_y
      - .offset:         38
        .size:           2
        .value_kind:     hidden_remainder_z
      - .offset:         56
        .size:           8
        .value_kind:     hidden_global_offset_x
      - .offset:         64
        .size:           8
        .value_kind:     hidden_global_offset_y
      - .offset:         72
        .size:           8
        .value_kind:     hidden_global_offset_z
      - .offset:         80
        .size:           2
        .value_kind:     hidden_grid_dims
    .group_segment_fixed_size: 256
    .kernarg_segment_align: 8
    .kernarg_segment_size: 272
    .language:       OpenCL C
    .language_version:
      - 2
      - 0
    .max_flat_workgroup_size: 256
    .name:           _Z6kernelI6reduceILN6hipcub20BlockReduceAlgorithmE1EEaLj256ELj2ELj100EEvPKT0_PS4_
    .private_segment_fixed_size: 0
    .sgpr_count:     16
    .sgpr_spill_count: 0
    .symbol:         _Z6kernelI6reduceILN6hipcub20BlockReduceAlgorithmE1EEaLj256ELj2ELj100EEvPKT0_PS4_.kd
    .uniform_work_group_size: 1
    .uses_dynamic_stack: false
    .vgpr_count:     8
    .vgpr_spill_count: 0
    .wavefront_size: 32
    .workgroup_processor_mode: 1
  - .args:
      - .address_space:  global
        .offset:         0
        .size:           8
        .value_kind:     global_buffer
      - .address_space:  global
        .offset:         8
        .size:           8
        .value_kind:     global_buffer
      - .offset:         16
        .size:           4
        .value_kind:     hidden_block_count_x
      - .offset:         20
        .size:           4
        .value_kind:     hidden_block_count_y
      - .offset:         24
        .size:           4
        .value_kind:     hidden_block_count_z
      - .offset:         28
        .size:           2
        .value_kind:     hidden_group_size_x
      - .offset:         30
        .size:           2
        .value_kind:     hidden_group_size_y
      - .offset:         32
        .size:           2
        .value_kind:     hidden_group_size_z
      - .offset:         34
        .size:           2
        .value_kind:     hidden_remainder_x
      - .offset:         36
        .size:           2
        .value_kind:     hidden_remainder_y
      - .offset:         38
        .size:           2
        .value_kind:     hidden_remainder_z
      - .offset:         56
        .size:           8
        .value_kind:     hidden_global_offset_x
      - .offset:         64
        .size:           8
        .value_kind:     hidden_global_offset_y
      - .offset:         72
        .size:           8
        .value_kind:     hidden_global_offset_z
      - .offset:         80
        .size:           2
        .value_kind:     hidden_grid_dims
    .group_segment_fixed_size: 256
    .kernarg_segment_align: 8
    .kernarg_segment_size: 272
    .language:       OpenCL C
    .language_version:
      - 2
      - 0
    .max_flat_workgroup_size: 256
    .name:           _Z6kernelI6reduceILN6hipcub20BlockReduceAlgorithmE1EEaLj256ELj3ELj100EEvPKT0_PS4_
    .private_segment_fixed_size: 0
    .sgpr_count:     16
    .sgpr_spill_count: 0
    .symbol:         _Z6kernelI6reduceILN6hipcub20BlockReduceAlgorithmE1EEaLj256ELj3ELj100EEvPKT0_PS4_.kd
    .uniform_work_group_size: 1
    .uses_dynamic_stack: false
    .vgpr_count:     9
    .vgpr_spill_count: 0
    .wavefront_size: 32
    .workgroup_processor_mode: 1
  - .args:
      - .address_space:  global
        .offset:         0
        .size:           8
        .value_kind:     global_buffer
      - .address_space:  global
        .offset:         8
        .size:           8
        .value_kind:     global_buffer
      - .offset:         16
        .size:           4
        .value_kind:     hidden_block_count_x
      - .offset:         20
        .size:           4
        .value_kind:     hidden_block_count_y
      - .offset:         24
        .size:           4
        .value_kind:     hidden_block_count_z
      - .offset:         28
        .size:           2
        .value_kind:     hidden_group_size_x
      - .offset:         30
        .size:           2
        .value_kind:     hidden_group_size_y
      - .offset:         32
        .size:           2
        .value_kind:     hidden_group_size_z
      - .offset:         34
        .size:           2
        .value_kind:     hidden_remainder_x
      - .offset:         36
        .size:           2
        .value_kind:     hidden_remainder_y
      - .offset:         38
        .size:           2
        .value_kind:     hidden_remainder_z
      - .offset:         56
        .size:           8
        .value_kind:     hidden_global_offset_x
      - .offset:         64
        .size:           8
        .value_kind:     hidden_global_offset_y
      - .offset:         72
        .size:           8
        .value_kind:     hidden_global_offset_z
      - .offset:         80
        .size:           2
        .value_kind:     hidden_grid_dims
    .group_segment_fixed_size: 256
    .kernarg_segment_align: 8
    .kernarg_segment_size: 272
    .language:       OpenCL C
    .language_version:
      - 2
      - 0
    .max_flat_workgroup_size: 256
    .name:           _Z6kernelI6reduceILN6hipcub20BlockReduceAlgorithmE1EEaLj256ELj4ELj100EEvPKT0_PS4_
    .private_segment_fixed_size: 0
    .sgpr_count:     16
    .sgpr_spill_count: 0
    .symbol:         _Z6kernelI6reduceILN6hipcub20BlockReduceAlgorithmE1EEaLj256ELj4ELj100EEvPKT0_PS4_.kd
    .uniform_work_group_size: 1
    .uses_dynamic_stack: false
    .vgpr_count:     8
    .vgpr_spill_count: 0
    .wavefront_size: 32
    .workgroup_processor_mode: 1
  - .args:
      - .address_space:  global
        .offset:         0
        .size:           8
        .value_kind:     global_buffer
      - .address_space:  global
        .offset:         8
        .size:           8
        .value_kind:     global_buffer
      - .offset:         16
        .size:           4
        .value_kind:     hidden_block_count_x
      - .offset:         20
        .size:           4
        .value_kind:     hidden_block_count_y
      - .offset:         24
        .size:           4
        .value_kind:     hidden_block_count_z
      - .offset:         28
        .size:           2
        .value_kind:     hidden_group_size_x
      - .offset:         30
        .size:           2
        .value_kind:     hidden_group_size_y
      - .offset:         32
        .size:           2
        .value_kind:     hidden_group_size_z
      - .offset:         34
        .size:           2
        .value_kind:     hidden_remainder_x
      - .offset:         36
        .size:           2
        .value_kind:     hidden_remainder_y
      - .offset:         38
        .size:           2
        .value_kind:     hidden_remainder_z
      - .offset:         56
        .size:           8
        .value_kind:     hidden_global_offset_x
      - .offset:         64
        .size:           8
        .value_kind:     hidden_global_offset_y
      - .offset:         72
        .size:           8
        .value_kind:     hidden_global_offset_z
      - .offset:         80
        .size:           2
        .value_kind:     hidden_grid_dims
    .group_segment_fixed_size: 256
    .kernarg_segment_align: 8
    .kernarg_segment_size: 272
    .language:       OpenCL C
    .language_version:
      - 2
      - 0
    .max_flat_workgroup_size: 256
    .name:           _Z6kernelI6reduceILN6hipcub20BlockReduceAlgorithmE1EEaLj256ELj8ELj100EEvPKT0_PS4_
    .private_segment_fixed_size: 0
    .sgpr_count:     16
    .sgpr_spill_count: 0
    .symbol:         _Z6kernelI6reduceILN6hipcub20BlockReduceAlgorithmE1EEaLj256ELj8ELj100EEvPKT0_PS4_.kd
    .uniform_work_group_size: 1
    .uses_dynamic_stack: false
    .vgpr_count:     11
    .vgpr_spill_count: 0
    .wavefront_size: 32
    .workgroup_processor_mode: 1
  - .args:
      - .address_space:  global
        .offset:         0
        .size:           8
        .value_kind:     global_buffer
      - .address_space:  global
        .offset:         8
        .size:           8
        .value_kind:     global_buffer
      - .offset:         16
        .size:           4
        .value_kind:     hidden_block_count_x
      - .offset:         20
        .size:           4
        .value_kind:     hidden_block_count_y
      - .offset:         24
        .size:           4
        .value_kind:     hidden_block_count_z
      - .offset:         28
        .size:           2
        .value_kind:     hidden_group_size_x
      - .offset:         30
        .size:           2
        .value_kind:     hidden_group_size_y
      - .offset:         32
        .size:           2
        .value_kind:     hidden_group_size_z
      - .offset:         34
        .size:           2
        .value_kind:     hidden_remainder_x
      - .offset:         36
        .size:           2
        .value_kind:     hidden_remainder_y
      - .offset:         38
        .size:           2
        .value_kind:     hidden_remainder_z
      - .offset:         56
        .size:           8
        .value_kind:     hidden_global_offset_x
      - .offset:         64
        .size:           8
        .value_kind:     hidden_global_offset_y
      - .offset:         72
        .size:           8
        .value_kind:     hidden_global_offset_z
      - .offset:         80
        .size:           2
        .value_kind:     hidden_grid_dims
    .group_segment_fixed_size: 256
    .kernarg_segment_align: 8
    .kernarg_segment_size: 272
    .language:       OpenCL C
    .language_version:
      - 2
      - 0
    .max_flat_workgroup_size: 256
    .name:           _Z6kernelI6reduceILN6hipcub20BlockReduceAlgorithmE1EEaLj256ELj11ELj100EEvPKT0_PS4_
    .private_segment_fixed_size: 0
    .sgpr_count:     16
    .sgpr_spill_count: 0
    .symbol:         _Z6kernelI6reduceILN6hipcub20BlockReduceAlgorithmE1EEaLj256ELj11ELj100EEvPKT0_PS4_.kd
    .uniform_work_group_size: 1
    .uses_dynamic_stack: false
    .vgpr_count:     15
    .vgpr_spill_count: 0
    .wavefront_size: 32
    .workgroup_processor_mode: 1
  - .args:
      - .address_space:  global
        .offset:         0
        .size:           8
        .value_kind:     global_buffer
      - .address_space:  global
        .offset:         8
        .size:           8
        .value_kind:     global_buffer
      - .offset:         16
        .size:           4
        .value_kind:     hidden_block_count_x
      - .offset:         20
        .size:           4
        .value_kind:     hidden_block_count_y
      - .offset:         24
        .size:           4
        .value_kind:     hidden_block_count_z
      - .offset:         28
        .size:           2
        .value_kind:     hidden_group_size_x
      - .offset:         30
        .size:           2
        .value_kind:     hidden_group_size_y
      - .offset:         32
        .size:           2
        .value_kind:     hidden_group_size_z
      - .offset:         34
        .size:           2
        .value_kind:     hidden_remainder_x
      - .offset:         36
        .size:           2
        .value_kind:     hidden_remainder_y
      - .offset:         38
        .size:           2
        .value_kind:     hidden_remainder_z
      - .offset:         56
        .size:           8
        .value_kind:     hidden_global_offset_x
      - .offset:         64
        .size:           8
        .value_kind:     hidden_global_offset_y
      - .offset:         72
        .size:           8
        .value_kind:     hidden_global_offset_z
      - .offset:         80
        .size:           2
        .value_kind:     hidden_grid_dims
    .group_segment_fixed_size: 256
    .kernarg_segment_align: 8
    .kernarg_segment_size: 272
    .language:       OpenCL C
    .language_version:
      - 2
      - 0
    .max_flat_workgroup_size: 256
    .name:           _Z6kernelI6reduceILN6hipcub20BlockReduceAlgorithmE1EEaLj256ELj16ELj100EEvPKT0_PS4_
    .private_segment_fixed_size: 0
    .sgpr_count:     16
    .sgpr_spill_count: 0
    .symbol:         _Z6kernelI6reduceILN6hipcub20BlockReduceAlgorithmE1EEaLj256ELj16ELj100EEvPKT0_PS4_.kd
    .uniform_work_group_size: 1
    .uses_dynamic_stack: false
    .vgpr_count:     19
    .vgpr_spill_count: 0
    .wavefront_size: 32
    .workgroup_processor_mode: 1
  - .args:
      - .address_space:  global
        .offset:         0
        .size:           8
        .value_kind:     global_buffer
      - .address_space:  global
        .offset:         8
        .size:           8
        .value_kind:     global_buffer
      - .offset:         16
        .size:           4
        .value_kind:     hidden_block_count_x
      - .offset:         20
        .size:           4
        .value_kind:     hidden_block_count_y
      - .offset:         24
        .size:           4
        .value_kind:     hidden_block_count_z
      - .offset:         28
        .size:           2
        .value_kind:     hidden_group_size_x
      - .offset:         30
        .size:           2
        .value_kind:     hidden_group_size_y
      - .offset:         32
        .size:           2
        .value_kind:     hidden_group_size_z
      - .offset:         34
        .size:           2
        .value_kind:     hidden_remainder_x
      - .offset:         36
        .size:           2
        .value_kind:     hidden_remainder_y
      - .offset:         38
        .size:           2
        .value_kind:     hidden_remainder_z
      - .offset:         56
        .size:           8
        .value_kind:     hidden_global_offset_x
      - .offset:         64
        .size:           8
        .value_kind:     hidden_global_offset_y
      - .offset:         72
        .size:           8
        .value_kind:     hidden_global_offset_z
      - .offset:         80
        .size:           2
        .value_kind:     hidden_grid_dims
    .group_segment_fixed_size: 256
    .kernarg_segment_align: 8
    .kernarg_segment_size: 272
    .language:       OpenCL C
    .language_version:
      - 2
      - 0
    .max_flat_workgroup_size: 256
    .name:           _Z6kernelI6reduceILN6hipcub20BlockReduceAlgorithmE1EEhLj256ELj1ELj100EEvPKT0_PS4_
    .private_segment_fixed_size: 0
    .sgpr_count:     16
    .sgpr_spill_count: 0
    .symbol:         _Z6kernelI6reduceILN6hipcub20BlockReduceAlgorithmE1EEhLj256ELj1ELj100EEvPKT0_PS4_.kd
    .uniform_work_group_size: 1
    .uses_dynamic_stack: false
    .vgpr_count:     7
    .vgpr_spill_count: 0
    .wavefront_size: 32
    .workgroup_processor_mode: 1
  - .args:
      - .address_space:  global
        .offset:         0
        .size:           8
        .value_kind:     global_buffer
      - .address_space:  global
        .offset:         8
        .size:           8
        .value_kind:     global_buffer
      - .offset:         16
        .size:           4
        .value_kind:     hidden_block_count_x
      - .offset:         20
        .size:           4
        .value_kind:     hidden_block_count_y
      - .offset:         24
        .size:           4
        .value_kind:     hidden_block_count_z
      - .offset:         28
        .size:           2
        .value_kind:     hidden_group_size_x
      - .offset:         30
        .size:           2
        .value_kind:     hidden_group_size_y
      - .offset:         32
        .size:           2
        .value_kind:     hidden_group_size_z
      - .offset:         34
        .size:           2
        .value_kind:     hidden_remainder_x
      - .offset:         36
        .size:           2
        .value_kind:     hidden_remainder_y
      - .offset:         38
        .size:           2
        .value_kind:     hidden_remainder_z
      - .offset:         56
        .size:           8
        .value_kind:     hidden_global_offset_x
      - .offset:         64
        .size:           8
        .value_kind:     hidden_global_offset_y
      - .offset:         72
        .size:           8
        .value_kind:     hidden_global_offset_z
      - .offset:         80
        .size:           2
        .value_kind:     hidden_grid_dims
    .group_segment_fixed_size: 256
    .kernarg_segment_align: 8
    .kernarg_segment_size: 272
    .language:       OpenCL C
    .language_version:
      - 2
      - 0
    .max_flat_workgroup_size: 256
    .name:           _Z6kernelI6reduceILN6hipcub20BlockReduceAlgorithmE1EEhLj256ELj2ELj100EEvPKT0_PS4_
    .private_segment_fixed_size: 0
    .sgpr_count:     16
    .sgpr_spill_count: 0
    .symbol:         _Z6kernelI6reduceILN6hipcub20BlockReduceAlgorithmE1EEhLj256ELj2ELj100EEvPKT0_PS4_.kd
    .uniform_work_group_size: 1
    .uses_dynamic_stack: false
    .vgpr_count:     8
    .vgpr_spill_count: 0
    .wavefront_size: 32
    .workgroup_processor_mode: 1
  - .args:
      - .address_space:  global
        .offset:         0
        .size:           8
        .value_kind:     global_buffer
      - .address_space:  global
        .offset:         8
        .size:           8
        .value_kind:     global_buffer
      - .offset:         16
        .size:           4
        .value_kind:     hidden_block_count_x
      - .offset:         20
        .size:           4
        .value_kind:     hidden_block_count_y
      - .offset:         24
        .size:           4
        .value_kind:     hidden_block_count_z
      - .offset:         28
        .size:           2
        .value_kind:     hidden_group_size_x
      - .offset:         30
        .size:           2
        .value_kind:     hidden_group_size_y
      - .offset:         32
        .size:           2
        .value_kind:     hidden_group_size_z
      - .offset:         34
        .size:           2
        .value_kind:     hidden_remainder_x
      - .offset:         36
        .size:           2
        .value_kind:     hidden_remainder_y
      - .offset:         38
        .size:           2
        .value_kind:     hidden_remainder_z
      - .offset:         56
        .size:           8
        .value_kind:     hidden_global_offset_x
      - .offset:         64
        .size:           8
        .value_kind:     hidden_global_offset_y
      - .offset:         72
        .size:           8
        .value_kind:     hidden_global_offset_z
      - .offset:         80
        .size:           2
        .value_kind:     hidden_grid_dims
    .group_segment_fixed_size: 256
    .kernarg_segment_align: 8
    .kernarg_segment_size: 272
    .language:       OpenCL C
    .language_version:
      - 2
      - 0
    .max_flat_workgroup_size: 256
    .name:           _Z6kernelI6reduceILN6hipcub20BlockReduceAlgorithmE1EEhLj256ELj3ELj100EEvPKT0_PS4_
    .private_segment_fixed_size: 0
    .sgpr_count:     16
    .sgpr_spill_count: 0
    .symbol:         _Z6kernelI6reduceILN6hipcub20BlockReduceAlgorithmE1EEhLj256ELj3ELj100EEvPKT0_PS4_.kd
    .uniform_work_group_size: 1
    .uses_dynamic_stack: false
    .vgpr_count:     9
    .vgpr_spill_count: 0
    .wavefront_size: 32
    .workgroup_processor_mode: 1
  - .args:
      - .address_space:  global
        .offset:         0
        .size:           8
        .value_kind:     global_buffer
      - .address_space:  global
        .offset:         8
        .size:           8
        .value_kind:     global_buffer
      - .offset:         16
        .size:           4
        .value_kind:     hidden_block_count_x
      - .offset:         20
        .size:           4
        .value_kind:     hidden_block_count_y
      - .offset:         24
        .size:           4
        .value_kind:     hidden_block_count_z
      - .offset:         28
        .size:           2
        .value_kind:     hidden_group_size_x
      - .offset:         30
        .size:           2
        .value_kind:     hidden_group_size_y
      - .offset:         32
        .size:           2
        .value_kind:     hidden_group_size_z
      - .offset:         34
        .size:           2
        .value_kind:     hidden_remainder_x
      - .offset:         36
        .size:           2
        .value_kind:     hidden_remainder_y
      - .offset:         38
        .size:           2
        .value_kind:     hidden_remainder_z
      - .offset:         56
        .size:           8
        .value_kind:     hidden_global_offset_x
      - .offset:         64
        .size:           8
        .value_kind:     hidden_global_offset_y
      - .offset:         72
        .size:           8
        .value_kind:     hidden_global_offset_z
      - .offset:         80
        .size:           2
        .value_kind:     hidden_grid_dims
    .group_segment_fixed_size: 256
    .kernarg_segment_align: 8
    .kernarg_segment_size: 272
    .language:       OpenCL C
    .language_version:
      - 2
      - 0
    .max_flat_workgroup_size: 256
    .name:           _Z6kernelI6reduceILN6hipcub20BlockReduceAlgorithmE1EEhLj256ELj4ELj100EEvPKT0_PS4_
    .private_segment_fixed_size: 0
    .sgpr_count:     16
    .sgpr_spill_count: 0
    .symbol:         _Z6kernelI6reduceILN6hipcub20BlockReduceAlgorithmE1EEhLj256ELj4ELj100EEvPKT0_PS4_.kd
    .uniform_work_group_size: 1
    .uses_dynamic_stack: false
    .vgpr_count:     8
    .vgpr_spill_count: 0
    .wavefront_size: 32
    .workgroup_processor_mode: 1
  - .args:
      - .address_space:  global
        .offset:         0
        .size:           8
        .value_kind:     global_buffer
      - .address_space:  global
        .offset:         8
        .size:           8
        .value_kind:     global_buffer
      - .offset:         16
        .size:           4
        .value_kind:     hidden_block_count_x
      - .offset:         20
        .size:           4
        .value_kind:     hidden_block_count_y
      - .offset:         24
        .size:           4
        .value_kind:     hidden_block_count_z
      - .offset:         28
        .size:           2
        .value_kind:     hidden_group_size_x
      - .offset:         30
        .size:           2
        .value_kind:     hidden_group_size_y
      - .offset:         32
        .size:           2
        .value_kind:     hidden_group_size_z
      - .offset:         34
        .size:           2
        .value_kind:     hidden_remainder_x
      - .offset:         36
        .size:           2
        .value_kind:     hidden_remainder_y
      - .offset:         38
        .size:           2
        .value_kind:     hidden_remainder_z
      - .offset:         56
        .size:           8
        .value_kind:     hidden_global_offset_x
      - .offset:         64
        .size:           8
        .value_kind:     hidden_global_offset_y
      - .offset:         72
        .size:           8
        .value_kind:     hidden_global_offset_z
      - .offset:         80
        .size:           2
        .value_kind:     hidden_grid_dims
    .group_segment_fixed_size: 256
    .kernarg_segment_align: 8
    .kernarg_segment_size: 272
    .language:       OpenCL C
    .language_version:
      - 2
      - 0
    .max_flat_workgroup_size: 256
    .name:           _Z6kernelI6reduceILN6hipcub20BlockReduceAlgorithmE1EEhLj256ELj8ELj100EEvPKT0_PS4_
    .private_segment_fixed_size: 0
    .sgpr_count:     16
    .sgpr_spill_count: 0
    .symbol:         _Z6kernelI6reduceILN6hipcub20BlockReduceAlgorithmE1EEhLj256ELj8ELj100EEvPKT0_PS4_.kd
    .uniform_work_group_size: 1
    .uses_dynamic_stack: false
    .vgpr_count:     11
    .vgpr_spill_count: 0
    .wavefront_size: 32
    .workgroup_processor_mode: 1
  - .args:
      - .address_space:  global
        .offset:         0
        .size:           8
        .value_kind:     global_buffer
      - .address_space:  global
        .offset:         8
        .size:           8
        .value_kind:     global_buffer
      - .offset:         16
        .size:           4
        .value_kind:     hidden_block_count_x
      - .offset:         20
        .size:           4
        .value_kind:     hidden_block_count_y
      - .offset:         24
        .size:           4
        .value_kind:     hidden_block_count_z
      - .offset:         28
        .size:           2
        .value_kind:     hidden_group_size_x
      - .offset:         30
        .size:           2
        .value_kind:     hidden_group_size_y
      - .offset:         32
        .size:           2
        .value_kind:     hidden_group_size_z
      - .offset:         34
        .size:           2
        .value_kind:     hidden_remainder_x
      - .offset:         36
        .size:           2
        .value_kind:     hidden_remainder_y
      - .offset:         38
        .size:           2
        .value_kind:     hidden_remainder_z
      - .offset:         56
        .size:           8
        .value_kind:     hidden_global_offset_x
      - .offset:         64
        .size:           8
        .value_kind:     hidden_global_offset_y
      - .offset:         72
        .size:           8
        .value_kind:     hidden_global_offset_z
      - .offset:         80
        .size:           2
        .value_kind:     hidden_grid_dims
    .group_segment_fixed_size: 256
    .kernarg_segment_align: 8
    .kernarg_segment_size: 272
    .language:       OpenCL C
    .language_version:
      - 2
      - 0
    .max_flat_workgroup_size: 256
    .name:           _Z6kernelI6reduceILN6hipcub20BlockReduceAlgorithmE1EEhLj256ELj11ELj100EEvPKT0_PS4_
    .private_segment_fixed_size: 0
    .sgpr_count:     16
    .sgpr_spill_count: 0
    .symbol:         _Z6kernelI6reduceILN6hipcub20BlockReduceAlgorithmE1EEhLj256ELj11ELj100EEvPKT0_PS4_.kd
    .uniform_work_group_size: 1
    .uses_dynamic_stack: false
    .vgpr_count:     15
    .vgpr_spill_count: 0
    .wavefront_size: 32
    .workgroup_processor_mode: 1
  - .args:
      - .address_space:  global
        .offset:         0
        .size:           8
        .value_kind:     global_buffer
      - .address_space:  global
        .offset:         8
        .size:           8
        .value_kind:     global_buffer
      - .offset:         16
        .size:           4
        .value_kind:     hidden_block_count_x
      - .offset:         20
        .size:           4
        .value_kind:     hidden_block_count_y
      - .offset:         24
        .size:           4
        .value_kind:     hidden_block_count_z
      - .offset:         28
        .size:           2
        .value_kind:     hidden_group_size_x
      - .offset:         30
        .size:           2
        .value_kind:     hidden_group_size_y
      - .offset:         32
        .size:           2
        .value_kind:     hidden_group_size_z
      - .offset:         34
        .size:           2
        .value_kind:     hidden_remainder_x
      - .offset:         36
        .size:           2
        .value_kind:     hidden_remainder_y
      - .offset:         38
        .size:           2
        .value_kind:     hidden_remainder_z
      - .offset:         56
        .size:           8
        .value_kind:     hidden_global_offset_x
      - .offset:         64
        .size:           8
        .value_kind:     hidden_global_offset_y
      - .offset:         72
        .size:           8
        .value_kind:     hidden_global_offset_z
      - .offset:         80
        .size:           2
        .value_kind:     hidden_grid_dims
    .group_segment_fixed_size: 256
    .kernarg_segment_align: 8
    .kernarg_segment_size: 272
    .language:       OpenCL C
    .language_version:
      - 2
      - 0
    .max_flat_workgroup_size: 256
    .name:           _Z6kernelI6reduceILN6hipcub20BlockReduceAlgorithmE1EEhLj256ELj16ELj100EEvPKT0_PS4_
    .private_segment_fixed_size: 0
    .sgpr_count:     16
    .sgpr_spill_count: 0
    .symbol:         _Z6kernelI6reduceILN6hipcub20BlockReduceAlgorithmE1EEhLj256ELj16ELj100EEvPKT0_PS4_.kd
    .uniform_work_group_size: 1
    .uses_dynamic_stack: false
    .vgpr_count:     19
    .vgpr_spill_count: 0
    .wavefront_size: 32
    .workgroup_processor_mode: 1
  - .args:
      - .address_space:  global
        .offset:         0
        .size:           8
        .value_kind:     global_buffer
      - .address_space:  global
        .offset:         8
        .size:           8
        .value_kind:     global_buffer
      - .offset:         16
        .size:           4
        .value_kind:     hidden_block_count_x
      - .offset:         20
        .size:           4
        .value_kind:     hidden_block_count_y
      - .offset:         24
        .size:           4
        .value_kind:     hidden_block_count_z
      - .offset:         28
        .size:           2
        .value_kind:     hidden_group_size_x
      - .offset:         30
        .size:           2
        .value_kind:     hidden_group_size_y
      - .offset:         32
        .size:           2
        .value_kind:     hidden_group_size_z
      - .offset:         34
        .size:           2
        .value_kind:     hidden_remainder_x
      - .offset:         36
        .size:           2
        .value_kind:     hidden_remainder_y
      - .offset:         38
        .size:           2
        .value_kind:     hidden_remainder_z
      - .offset:         56
        .size:           8
        .value_kind:     hidden_global_offset_x
      - .offset:         64
        .size:           8
        .value_kind:     hidden_global_offset_y
      - .offset:         72
        .size:           8
        .value_kind:     hidden_global_offset_z
      - .offset:         80
        .size:           2
        .value_kind:     hidden_grid_dims
    .group_segment_fixed_size: 256
    .kernarg_segment_align: 8
    .kernarg_segment_size: 272
    .language:       OpenCL C
    .language_version:
      - 2
      - 0
    .max_flat_workgroup_size: 64
    .name:           _Z6kernelI6reduceILN6hipcub20BlockReduceAlgorithmE2EEiLj64ELj1ELj100EEvPKT0_PS4_
    .private_segment_fixed_size: 0
    .sgpr_count:     18
    .sgpr_spill_count: 0
    .symbol:         _Z6kernelI6reduceILN6hipcub20BlockReduceAlgorithmE2EEiLj64ELj1ELj100EEvPKT0_PS4_.kd
    .uniform_work_group_size: 1
    .uses_dynamic_stack: false
    .vgpr_count:     5
    .vgpr_spill_count: 0
    .wavefront_size: 32
    .workgroup_processor_mode: 1
  - .args:
      - .address_space:  global
        .offset:         0
        .size:           8
        .value_kind:     global_buffer
      - .address_space:  global
        .offset:         8
        .size:           8
        .value_kind:     global_buffer
      - .offset:         16
        .size:           4
        .value_kind:     hidden_block_count_x
      - .offset:         20
        .size:           4
        .value_kind:     hidden_block_count_y
      - .offset:         24
        .size:           4
        .value_kind:     hidden_block_count_z
      - .offset:         28
        .size:           2
        .value_kind:     hidden_group_size_x
      - .offset:         30
        .size:           2
        .value_kind:     hidden_group_size_y
      - .offset:         32
        .size:           2
        .value_kind:     hidden_group_size_z
      - .offset:         34
        .size:           2
        .value_kind:     hidden_remainder_x
      - .offset:         36
        .size:           2
        .value_kind:     hidden_remainder_y
      - .offset:         38
        .size:           2
        .value_kind:     hidden_remainder_z
      - .offset:         56
        .size:           8
        .value_kind:     hidden_global_offset_x
      - .offset:         64
        .size:           8
        .value_kind:     hidden_global_offset_y
      - .offset:         72
        .size:           8
        .value_kind:     hidden_global_offset_z
      - .offset:         80
        .size:           2
        .value_kind:     hidden_grid_dims
    .group_segment_fixed_size: 256
    .kernarg_segment_align: 8
    .kernarg_segment_size: 272
    .language:       OpenCL C
    .language_version:
      - 2
      - 0
    .max_flat_workgroup_size: 64
    .name:           _Z6kernelI6reduceILN6hipcub20BlockReduceAlgorithmE2EEiLj64ELj2ELj100EEvPKT0_PS4_
    .private_segment_fixed_size: 0
    .sgpr_count:     18
    .sgpr_spill_count: 0
    .symbol:         _Z6kernelI6reduceILN6hipcub20BlockReduceAlgorithmE2EEiLj64ELj2ELj100EEvPKT0_PS4_.kd
    .uniform_work_group_size: 1
    .uses_dynamic_stack: false
    .vgpr_count:     6
    .vgpr_spill_count: 0
    .wavefront_size: 32
    .workgroup_processor_mode: 1
  - .args:
      - .address_space:  global
        .offset:         0
        .size:           8
        .value_kind:     global_buffer
      - .address_space:  global
        .offset:         8
        .size:           8
        .value_kind:     global_buffer
      - .offset:         16
        .size:           4
        .value_kind:     hidden_block_count_x
      - .offset:         20
        .size:           4
        .value_kind:     hidden_block_count_y
      - .offset:         24
        .size:           4
        .value_kind:     hidden_block_count_z
      - .offset:         28
        .size:           2
        .value_kind:     hidden_group_size_x
      - .offset:         30
        .size:           2
        .value_kind:     hidden_group_size_y
      - .offset:         32
        .size:           2
        .value_kind:     hidden_group_size_z
      - .offset:         34
        .size:           2
        .value_kind:     hidden_remainder_x
      - .offset:         36
        .size:           2
        .value_kind:     hidden_remainder_y
      - .offset:         38
        .size:           2
        .value_kind:     hidden_remainder_z
      - .offset:         56
        .size:           8
        .value_kind:     hidden_global_offset_x
      - .offset:         64
        .size:           8
        .value_kind:     hidden_global_offset_y
      - .offset:         72
        .size:           8
        .value_kind:     hidden_global_offset_z
      - .offset:         80
        .size:           2
        .value_kind:     hidden_grid_dims
    .group_segment_fixed_size: 256
    .kernarg_segment_align: 8
    .kernarg_segment_size: 272
    .language:       OpenCL C
    .language_version:
      - 2
      - 0
    .max_flat_workgroup_size: 64
    .name:           _Z6kernelI6reduceILN6hipcub20BlockReduceAlgorithmE2EEiLj64ELj3ELj100EEvPKT0_PS4_
    .private_segment_fixed_size: 0
    .sgpr_count:     18
    .sgpr_spill_count: 0
    .symbol:         _Z6kernelI6reduceILN6hipcub20BlockReduceAlgorithmE2EEiLj64ELj3ELj100EEvPKT0_PS4_.kd
    .uniform_work_group_size: 1
    .uses_dynamic_stack: false
    .vgpr_count:     9
    .vgpr_spill_count: 0
    .wavefront_size: 32
    .workgroup_processor_mode: 1
  - .args:
      - .address_space:  global
        .offset:         0
        .size:           8
        .value_kind:     global_buffer
      - .address_space:  global
        .offset:         8
        .size:           8
        .value_kind:     global_buffer
      - .offset:         16
        .size:           4
        .value_kind:     hidden_block_count_x
      - .offset:         20
        .size:           4
        .value_kind:     hidden_block_count_y
      - .offset:         24
        .size:           4
        .value_kind:     hidden_block_count_z
      - .offset:         28
        .size:           2
        .value_kind:     hidden_group_size_x
      - .offset:         30
        .size:           2
        .value_kind:     hidden_group_size_y
      - .offset:         32
        .size:           2
        .value_kind:     hidden_group_size_z
      - .offset:         34
        .size:           2
        .value_kind:     hidden_remainder_x
      - .offset:         36
        .size:           2
        .value_kind:     hidden_remainder_y
      - .offset:         38
        .size:           2
        .value_kind:     hidden_remainder_z
      - .offset:         56
        .size:           8
        .value_kind:     hidden_global_offset_x
      - .offset:         64
        .size:           8
        .value_kind:     hidden_global_offset_y
      - .offset:         72
        .size:           8
        .value_kind:     hidden_global_offset_z
      - .offset:         80
        .size:           2
        .value_kind:     hidden_grid_dims
    .group_segment_fixed_size: 256
    .kernarg_segment_align: 8
    .kernarg_segment_size: 272
    .language:       OpenCL C
    .language_version:
      - 2
      - 0
    .max_flat_workgroup_size: 64
    .name:           _Z6kernelI6reduceILN6hipcub20BlockReduceAlgorithmE2EEiLj64ELj4ELj100EEvPKT0_PS4_
    .private_segment_fixed_size: 0
    .sgpr_count:     18
    .sgpr_spill_count: 0
    .symbol:         _Z6kernelI6reduceILN6hipcub20BlockReduceAlgorithmE2EEiLj64ELj4ELj100EEvPKT0_PS4_.kd
    .uniform_work_group_size: 1
    .uses_dynamic_stack: false
    .vgpr_count:     8
    .vgpr_spill_count: 0
    .wavefront_size: 32
    .workgroup_processor_mode: 1
  - .args:
      - .address_space:  global
        .offset:         0
        .size:           8
        .value_kind:     global_buffer
      - .address_space:  global
        .offset:         8
        .size:           8
        .value_kind:     global_buffer
      - .offset:         16
        .size:           4
        .value_kind:     hidden_block_count_x
      - .offset:         20
        .size:           4
        .value_kind:     hidden_block_count_y
      - .offset:         24
        .size:           4
        .value_kind:     hidden_block_count_z
      - .offset:         28
        .size:           2
        .value_kind:     hidden_group_size_x
      - .offset:         30
        .size:           2
        .value_kind:     hidden_group_size_y
      - .offset:         32
        .size:           2
        .value_kind:     hidden_group_size_z
      - .offset:         34
        .size:           2
        .value_kind:     hidden_remainder_x
      - .offset:         36
        .size:           2
        .value_kind:     hidden_remainder_y
      - .offset:         38
        .size:           2
        .value_kind:     hidden_remainder_z
      - .offset:         56
        .size:           8
        .value_kind:     hidden_global_offset_x
      - .offset:         64
        .size:           8
        .value_kind:     hidden_global_offset_y
      - .offset:         72
        .size:           8
        .value_kind:     hidden_global_offset_z
      - .offset:         80
        .size:           2
        .value_kind:     hidden_grid_dims
    .group_segment_fixed_size: 256
    .kernarg_segment_align: 8
    .kernarg_segment_size: 272
    .language:       OpenCL C
    .language_version:
      - 2
      - 0
    .max_flat_workgroup_size: 64
    .name:           _Z6kernelI6reduceILN6hipcub20BlockReduceAlgorithmE2EEiLj64ELj8ELj100EEvPKT0_PS4_
    .private_segment_fixed_size: 0
    .sgpr_count:     18
    .sgpr_spill_count: 0
    .symbol:         _Z6kernelI6reduceILN6hipcub20BlockReduceAlgorithmE2EEiLj64ELj8ELj100EEvPKT0_PS4_.kd
    .uniform_work_group_size: 1
    .uses_dynamic_stack: false
    .vgpr_count:     12
    .vgpr_spill_count: 0
    .wavefront_size: 32
    .workgroup_processor_mode: 1
  - .args:
      - .address_space:  global
        .offset:         0
        .size:           8
        .value_kind:     global_buffer
      - .address_space:  global
        .offset:         8
        .size:           8
        .value_kind:     global_buffer
      - .offset:         16
        .size:           4
        .value_kind:     hidden_block_count_x
      - .offset:         20
        .size:           4
        .value_kind:     hidden_block_count_y
      - .offset:         24
        .size:           4
        .value_kind:     hidden_block_count_z
      - .offset:         28
        .size:           2
        .value_kind:     hidden_group_size_x
      - .offset:         30
        .size:           2
        .value_kind:     hidden_group_size_y
      - .offset:         32
        .size:           2
        .value_kind:     hidden_group_size_z
      - .offset:         34
        .size:           2
        .value_kind:     hidden_remainder_x
      - .offset:         36
        .size:           2
        .value_kind:     hidden_remainder_y
      - .offset:         38
        .size:           2
        .value_kind:     hidden_remainder_z
      - .offset:         56
        .size:           8
        .value_kind:     hidden_global_offset_x
      - .offset:         64
        .size:           8
        .value_kind:     hidden_global_offset_y
      - .offset:         72
        .size:           8
        .value_kind:     hidden_global_offset_z
      - .offset:         80
        .size:           2
        .value_kind:     hidden_grid_dims
    .group_segment_fixed_size: 256
    .kernarg_segment_align: 8
    .kernarg_segment_size: 272
    .language:       OpenCL C
    .language_version:
      - 2
      - 0
    .max_flat_workgroup_size: 64
    .name:           _Z6kernelI6reduceILN6hipcub20BlockReduceAlgorithmE2EEiLj64ELj11ELj100EEvPKT0_PS4_
    .private_segment_fixed_size: 0
    .sgpr_count:     18
    .sgpr_spill_count: 0
    .symbol:         _Z6kernelI6reduceILN6hipcub20BlockReduceAlgorithmE2EEiLj64ELj11ELj100EEvPKT0_PS4_.kd
    .uniform_work_group_size: 1
    .uses_dynamic_stack: false
    .vgpr_count:     25
    .vgpr_spill_count: 0
    .wavefront_size: 32
    .workgroup_processor_mode: 1
  - .args:
      - .address_space:  global
        .offset:         0
        .size:           8
        .value_kind:     global_buffer
      - .address_space:  global
        .offset:         8
        .size:           8
        .value_kind:     global_buffer
      - .offset:         16
        .size:           4
        .value_kind:     hidden_block_count_x
      - .offset:         20
        .size:           4
        .value_kind:     hidden_block_count_y
      - .offset:         24
        .size:           4
        .value_kind:     hidden_block_count_z
      - .offset:         28
        .size:           2
        .value_kind:     hidden_group_size_x
      - .offset:         30
        .size:           2
        .value_kind:     hidden_group_size_y
      - .offset:         32
        .size:           2
        .value_kind:     hidden_group_size_z
      - .offset:         34
        .size:           2
        .value_kind:     hidden_remainder_x
      - .offset:         36
        .size:           2
        .value_kind:     hidden_remainder_y
      - .offset:         38
        .size:           2
        .value_kind:     hidden_remainder_z
      - .offset:         56
        .size:           8
        .value_kind:     hidden_global_offset_x
      - .offset:         64
        .size:           8
        .value_kind:     hidden_global_offset_y
      - .offset:         72
        .size:           8
        .value_kind:     hidden_global_offset_z
      - .offset:         80
        .size:           2
        .value_kind:     hidden_grid_dims
    .group_segment_fixed_size: 256
    .kernarg_segment_align: 8
    .kernarg_segment_size: 272
    .language:       OpenCL C
    .language_version:
      - 2
      - 0
    .max_flat_workgroup_size: 64
    .name:           _Z6kernelI6reduceILN6hipcub20BlockReduceAlgorithmE2EEiLj64ELj16ELj100EEvPKT0_PS4_
    .private_segment_fixed_size: 0
    .sgpr_count:     18
    .sgpr_spill_count: 0
    .symbol:         _Z6kernelI6reduceILN6hipcub20BlockReduceAlgorithmE2EEiLj64ELj16ELj100EEvPKT0_PS4_.kd
    .uniform_work_group_size: 1
    .uses_dynamic_stack: false
    .vgpr_count:     17
    .vgpr_spill_count: 0
    .wavefront_size: 32
    .workgroup_processor_mode: 1
  - .args:
      - .address_space:  global
        .offset:         0
        .size:           8
        .value_kind:     global_buffer
      - .address_space:  global
        .offset:         8
        .size:           8
        .value_kind:     global_buffer
      - .offset:         16
        .size:           4
        .value_kind:     hidden_block_count_x
      - .offset:         20
        .size:           4
        .value_kind:     hidden_block_count_y
      - .offset:         24
        .size:           4
        .value_kind:     hidden_block_count_z
      - .offset:         28
        .size:           2
        .value_kind:     hidden_group_size_x
      - .offset:         30
        .size:           2
        .value_kind:     hidden_group_size_y
      - .offset:         32
        .size:           2
        .value_kind:     hidden_group_size_z
      - .offset:         34
        .size:           2
        .value_kind:     hidden_remainder_x
      - .offset:         36
        .size:           2
        .value_kind:     hidden_remainder_y
      - .offset:         38
        .size:           2
        .value_kind:     hidden_remainder_z
      - .offset:         56
        .size:           8
        .value_kind:     hidden_global_offset_x
      - .offset:         64
        .size:           8
        .value_kind:     hidden_global_offset_y
      - .offset:         72
        .size:           8
        .value_kind:     hidden_global_offset_z
      - .offset:         80
        .size:           2
        .value_kind:     hidden_grid_dims
    .group_segment_fixed_size: 256
    .kernarg_segment_align: 8
    .kernarg_segment_size: 272
    .language:       OpenCL C
    .language_version:
      - 2
      - 0
    .max_flat_workgroup_size: 64
    .name:           _Z6kernelI6reduceILN6hipcub20BlockReduceAlgorithmE2EEfLj64ELj1ELj100EEvPKT0_PS4_
    .private_segment_fixed_size: 0
    .sgpr_count:     18
    .sgpr_spill_count: 0
    .symbol:         _Z6kernelI6reduceILN6hipcub20BlockReduceAlgorithmE2EEfLj64ELj1ELj100EEvPKT0_PS4_.kd
    .uniform_work_group_size: 1
    .uses_dynamic_stack: false
    .vgpr_count:     5
    .vgpr_spill_count: 0
    .wavefront_size: 32
    .workgroup_processor_mode: 1
  - .args:
      - .address_space:  global
        .offset:         0
        .size:           8
        .value_kind:     global_buffer
      - .address_space:  global
        .offset:         8
        .size:           8
        .value_kind:     global_buffer
      - .offset:         16
        .size:           4
        .value_kind:     hidden_block_count_x
      - .offset:         20
        .size:           4
        .value_kind:     hidden_block_count_y
      - .offset:         24
        .size:           4
        .value_kind:     hidden_block_count_z
      - .offset:         28
        .size:           2
        .value_kind:     hidden_group_size_x
      - .offset:         30
        .size:           2
        .value_kind:     hidden_group_size_y
      - .offset:         32
        .size:           2
        .value_kind:     hidden_group_size_z
      - .offset:         34
        .size:           2
        .value_kind:     hidden_remainder_x
      - .offset:         36
        .size:           2
        .value_kind:     hidden_remainder_y
      - .offset:         38
        .size:           2
        .value_kind:     hidden_remainder_z
      - .offset:         56
        .size:           8
        .value_kind:     hidden_global_offset_x
      - .offset:         64
        .size:           8
        .value_kind:     hidden_global_offset_y
      - .offset:         72
        .size:           8
        .value_kind:     hidden_global_offset_z
      - .offset:         80
        .size:           2
        .value_kind:     hidden_grid_dims
    .group_segment_fixed_size: 256
    .kernarg_segment_align: 8
    .kernarg_segment_size: 272
    .language:       OpenCL C
    .language_version:
      - 2
      - 0
    .max_flat_workgroup_size: 64
    .name:           _Z6kernelI6reduceILN6hipcub20BlockReduceAlgorithmE2EEfLj64ELj2ELj100EEvPKT0_PS4_
    .private_segment_fixed_size: 0
    .sgpr_count:     18
    .sgpr_spill_count: 0
    .symbol:         _Z6kernelI6reduceILN6hipcub20BlockReduceAlgorithmE2EEfLj64ELj2ELj100EEvPKT0_PS4_.kd
    .uniform_work_group_size: 1
    .uses_dynamic_stack: false
    .vgpr_count:     6
    .vgpr_spill_count: 0
    .wavefront_size: 32
    .workgroup_processor_mode: 1
  - .args:
      - .address_space:  global
        .offset:         0
        .size:           8
        .value_kind:     global_buffer
      - .address_space:  global
        .offset:         8
        .size:           8
        .value_kind:     global_buffer
      - .offset:         16
        .size:           4
        .value_kind:     hidden_block_count_x
      - .offset:         20
        .size:           4
        .value_kind:     hidden_block_count_y
      - .offset:         24
        .size:           4
        .value_kind:     hidden_block_count_z
      - .offset:         28
        .size:           2
        .value_kind:     hidden_group_size_x
      - .offset:         30
        .size:           2
        .value_kind:     hidden_group_size_y
      - .offset:         32
        .size:           2
        .value_kind:     hidden_group_size_z
      - .offset:         34
        .size:           2
        .value_kind:     hidden_remainder_x
      - .offset:         36
        .size:           2
        .value_kind:     hidden_remainder_y
      - .offset:         38
        .size:           2
        .value_kind:     hidden_remainder_z
      - .offset:         56
        .size:           8
        .value_kind:     hidden_global_offset_x
      - .offset:         64
        .size:           8
        .value_kind:     hidden_global_offset_y
      - .offset:         72
        .size:           8
        .value_kind:     hidden_global_offset_z
      - .offset:         80
        .size:           2
        .value_kind:     hidden_grid_dims
    .group_segment_fixed_size: 256
    .kernarg_segment_align: 8
    .kernarg_segment_size: 272
    .language:       OpenCL C
    .language_version:
      - 2
      - 0
    .max_flat_workgroup_size: 64
    .name:           _Z6kernelI6reduceILN6hipcub20BlockReduceAlgorithmE2EEfLj64ELj3ELj100EEvPKT0_PS4_
    .private_segment_fixed_size: 0
    .sgpr_count:     18
    .sgpr_spill_count: 0
    .symbol:         _Z6kernelI6reduceILN6hipcub20BlockReduceAlgorithmE2EEfLj64ELj3ELj100EEvPKT0_PS4_.kd
    .uniform_work_group_size: 1
    .uses_dynamic_stack: false
    .vgpr_count:     9
    .vgpr_spill_count: 0
    .wavefront_size: 32
    .workgroup_processor_mode: 1
  - .args:
      - .address_space:  global
        .offset:         0
        .size:           8
        .value_kind:     global_buffer
      - .address_space:  global
        .offset:         8
        .size:           8
        .value_kind:     global_buffer
      - .offset:         16
        .size:           4
        .value_kind:     hidden_block_count_x
      - .offset:         20
        .size:           4
        .value_kind:     hidden_block_count_y
      - .offset:         24
        .size:           4
        .value_kind:     hidden_block_count_z
      - .offset:         28
        .size:           2
        .value_kind:     hidden_group_size_x
      - .offset:         30
        .size:           2
        .value_kind:     hidden_group_size_y
      - .offset:         32
        .size:           2
        .value_kind:     hidden_group_size_z
      - .offset:         34
        .size:           2
        .value_kind:     hidden_remainder_x
      - .offset:         36
        .size:           2
        .value_kind:     hidden_remainder_y
      - .offset:         38
        .size:           2
        .value_kind:     hidden_remainder_z
      - .offset:         56
        .size:           8
        .value_kind:     hidden_global_offset_x
      - .offset:         64
        .size:           8
        .value_kind:     hidden_global_offset_y
      - .offset:         72
        .size:           8
        .value_kind:     hidden_global_offset_z
      - .offset:         80
        .size:           2
        .value_kind:     hidden_grid_dims
    .group_segment_fixed_size: 256
    .kernarg_segment_align: 8
    .kernarg_segment_size: 272
    .language:       OpenCL C
    .language_version:
      - 2
      - 0
    .max_flat_workgroup_size: 64
    .name:           _Z6kernelI6reduceILN6hipcub20BlockReduceAlgorithmE2EEfLj64ELj4ELj100EEvPKT0_PS4_
    .private_segment_fixed_size: 0
    .sgpr_count:     18
    .sgpr_spill_count: 0
    .symbol:         _Z6kernelI6reduceILN6hipcub20BlockReduceAlgorithmE2EEfLj64ELj4ELj100EEvPKT0_PS4_.kd
    .uniform_work_group_size: 1
    .uses_dynamic_stack: false
    .vgpr_count:     8
    .vgpr_spill_count: 0
    .wavefront_size: 32
    .workgroup_processor_mode: 1
  - .args:
      - .address_space:  global
        .offset:         0
        .size:           8
        .value_kind:     global_buffer
      - .address_space:  global
        .offset:         8
        .size:           8
        .value_kind:     global_buffer
      - .offset:         16
        .size:           4
        .value_kind:     hidden_block_count_x
      - .offset:         20
        .size:           4
        .value_kind:     hidden_block_count_y
      - .offset:         24
        .size:           4
        .value_kind:     hidden_block_count_z
      - .offset:         28
        .size:           2
        .value_kind:     hidden_group_size_x
      - .offset:         30
        .size:           2
        .value_kind:     hidden_group_size_y
      - .offset:         32
        .size:           2
        .value_kind:     hidden_group_size_z
      - .offset:         34
        .size:           2
        .value_kind:     hidden_remainder_x
      - .offset:         36
        .size:           2
        .value_kind:     hidden_remainder_y
      - .offset:         38
        .size:           2
        .value_kind:     hidden_remainder_z
      - .offset:         56
        .size:           8
        .value_kind:     hidden_global_offset_x
      - .offset:         64
        .size:           8
        .value_kind:     hidden_global_offset_y
      - .offset:         72
        .size:           8
        .value_kind:     hidden_global_offset_z
      - .offset:         80
        .size:           2
        .value_kind:     hidden_grid_dims
    .group_segment_fixed_size: 256
    .kernarg_segment_align: 8
    .kernarg_segment_size: 272
    .language:       OpenCL C
    .language_version:
      - 2
      - 0
    .max_flat_workgroup_size: 64
    .name:           _Z6kernelI6reduceILN6hipcub20BlockReduceAlgorithmE2EEfLj64ELj8ELj100EEvPKT0_PS4_
    .private_segment_fixed_size: 0
    .sgpr_count:     18
    .sgpr_spill_count: 0
    .symbol:         _Z6kernelI6reduceILN6hipcub20BlockReduceAlgorithmE2EEfLj64ELj8ELj100EEvPKT0_PS4_.kd
    .uniform_work_group_size: 1
    .uses_dynamic_stack: false
    .vgpr_count:     12
    .vgpr_spill_count: 0
    .wavefront_size: 32
    .workgroup_processor_mode: 1
  - .args:
      - .address_space:  global
        .offset:         0
        .size:           8
        .value_kind:     global_buffer
      - .address_space:  global
        .offset:         8
        .size:           8
        .value_kind:     global_buffer
      - .offset:         16
        .size:           4
        .value_kind:     hidden_block_count_x
      - .offset:         20
        .size:           4
        .value_kind:     hidden_block_count_y
      - .offset:         24
        .size:           4
        .value_kind:     hidden_block_count_z
      - .offset:         28
        .size:           2
        .value_kind:     hidden_group_size_x
      - .offset:         30
        .size:           2
        .value_kind:     hidden_group_size_y
      - .offset:         32
        .size:           2
        .value_kind:     hidden_group_size_z
      - .offset:         34
        .size:           2
        .value_kind:     hidden_remainder_x
      - .offset:         36
        .size:           2
        .value_kind:     hidden_remainder_y
      - .offset:         38
        .size:           2
        .value_kind:     hidden_remainder_z
      - .offset:         56
        .size:           8
        .value_kind:     hidden_global_offset_x
      - .offset:         64
        .size:           8
        .value_kind:     hidden_global_offset_y
      - .offset:         72
        .size:           8
        .value_kind:     hidden_global_offset_z
      - .offset:         80
        .size:           2
        .value_kind:     hidden_grid_dims
    .group_segment_fixed_size: 256
    .kernarg_segment_align: 8
    .kernarg_segment_size: 272
    .language:       OpenCL C
    .language_version:
      - 2
      - 0
    .max_flat_workgroup_size: 64
    .name:           _Z6kernelI6reduceILN6hipcub20BlockReduceAlgorithmE2EEfLj64ELj11ELj100EEvPKT0_PS4_
    .private_segment_fixed_size: 0
    .sgpr_count:     18
    .sgpr_spill_count: 0
    .symbol:         _Z6kernelI6reduceILN6hipcub20BlockReduceAlgorithmE2EEfLj64ELj11ELj100EEvPKT0_PS4_.kd
    .uniform_work_group_size: 1
    .uses_dynamic_stack: false
    .vgpr_count:     27
    .vgpr_spill_count: 0
    .wavefront_size: 32
    .workgroup_processor_mode: 1
  - .args:
      - .address_space:  global
        .offset:         0
        .size:           8
        .value_kind:     global_buffer
      - .address_space:  global
        .offset:         8
        .size:           8
        .value_kind:     global_buffer
      - .offset:         16
        .size:           4
        .value_kind:     hidden_block_count_x
      - .offset:         20
        .size:           4
        .value_kind:     hidden_block_count_y
      - .offset:         24
        .size:           4
        .value_kind:     hidden_block_count_z
      - .offset:         28
        .size:           2
        .value_kind:     hidden_group_size_x
      - .offset:         30
        .size:           2
        .value_kind:     hidden_group_size_y
      - .offset:         32
        .size:           2
        .value_kind:     hidden_group_size_z
      - .offset:         34
        .size:           2
        .value_kind:     hidden_remainder_x
      - .offset:         36
        .size:           2
        .value_kind:     hidden_remainder_y
      - .offset:         38
        .size:           2
        .value_kind:     hidden_remainder_z
      - .offset:         56
        .size:           8
        .value_kind:     hidden_global_offset_x
      - .offset:         64
        .size:           8
        .value_kind:     hidden_global_offset_y
      - .offset:         72
        .size:           8
        .value_kind:     hidden_global_offset_z
      - .offset:         80
        .size:           2
        .value_kind:     hidden_grid_dims
    .group_segment_fixed_size: 256
    .kernarg_segment_align: 8
    .kernarg_segment_size: 272
    .language:       OpenCL C
    .language_version:
      - 2
      - 0
    .max_flat_workgroup_size: 64
    .name:           _Z6kernelI6reduceILN6hipcub20BlockReduceAlgorithmE2EEfLj64ELj16ELj100EEvPKT0_PS4_
    .private_segment_fixed_size: 0
    .sgpr_count:     18
    .sgpr_spill_count: 0
    .symbol:         _Z6kernelI6reduceILN6hipcub20BlockReduceAlgorithmE2EEfLj64ELj16ELj100EEvPKT0_PS4_.kd
    .uniform_work_group_size: 1
    .uses_dynamic_stack: false
    .vgpr_count:     20
    .vgpr_spill_count: 0
    .wavefront_size: 32
    .workgroup_processor_mode: 1
  - .args:
      - .address_space:  global
        .offset:         0
        .size:           8
        .value_kind:     global_buffer
      - .address_space:  global
        .offset:         8
        .size:           8
        .value_kind:     global_buffer
      - .offset:         16
        .size:           4
        .value_kind:     hidden_block_count_x
      - .offset:         20
        .size:           4
        .value_kind:     hidden_block_count_y
      - .offset:         24
        .size:           4
        .value_kind:     hidden_block_count_z
      - .offset:         28
        .size:           2
        .value_kind:     hidden_group_size_x
      - .offset:         30
        .size:           2
        .value_kind:     hidden_group_size_y
      - .offset:         32
        .size:           2
        .value_kind:     hidden_group_size_z
      - .offset:         34
        .size:           2
        .value_kind:     hidden_remainder_x
      - .offset:         36
        .size:           2
        .value_kind:     hidden_remainder_y
      - .offset:         38
        .size:           2
        .value_kind:     hidden_remainder_z
      - .offset:         56
        .size:           8
        .value_kind:     hidden_global_offset_x
      - .offset:         64
        .size:           8
        .value_kind:     hidden_global_offset_y
      - .offset:         72
        .size:           8
        .value_kind:     hidden_global_offset_z
      - .offset:         80
        .size:           2
        .value_kind:     hidden_grid_dims
    .group_segment_fixed_size: 512
    .kernarg_segment_align: 8
    .kernarg_segment_size: 272
    .language:       OpenCL C
    .language_version:
      - 2
      - 0
    .max_flat_workgroup_size: 64
    .name:           _Z6kernelI6reduceILN6hipcub20BlockReduceAlgorithmE2EEdLj64ELj1ELj100EEvPKT0_PS4_
    .private_segment_fixed_size: 0
    .sgpr_count:     18
    .sgpr_spill_count: 0
    .symbol:         _Z6kernelI6reduceILN6hipcub20BlockReduceAlgorithmE2EEdLj64ELj1ELj100EEvPKT0_PS4_.kd
    .uniform_work_group_size: 1
    .uses_dynamic_stack: false
    .vgpr_count:     7
    .vgpr_spill_count: 0
    .wavefront_size: 32
    .workgroup_processor_mode: 1
  - .args:
      - .address_space:  global
        .offset:         0
        .size:           8
        .value_kind:     global_buffer
      - .address_space:  global
        .offset:         8
        .size:           8
        .value_kind:     global_buffer
      - .offset:         16
        .size:           4
        .value_kind:     hidden_block_count_x
      - .offset:         20
        .size:           4
        .value_kind:     hidden_block_count_y
      - .offset:         24
        .size:           4
        .value_kind:     hidden_block_count_z
      - .offset:         28
        .size:           2
        .value_kind:     hidden_group_size_x
      - .offset:         30
        .size:           2
        .value_kind:     hidden_group_size_y
      - .offset:         32
        .size:           2
        .value_kind:     hidden_group_size_z
      - .offset:         34
        .size:           2
        .value_kind:     hidden_remainder_x
      - .offset:         36
        .size:           2
        .value_kind:     hidden_remainder_y
      - .offset:         38
        .size:           2
        .value_kind:     hidden_remainder_z
      - .offset:         56
        .size:           8
        .value_kind:     hidden_global_offset_x
      - .offset:         64
        .size:           8
        .value_kind:     hidden_global_offset_y
      - .offset:         72
        .size:           8
        .value_kind:     hidden_global_offset_z
      - .offset:         80
        .size:           2
        .value_kind:     hidden_grid_dims
    .group_segment_fixed_size: 512
    .kernarg_segment_align: 8
    .kernarg_segment_size: 272
    .language:       OpenCL C
    .language_version:
      - 2
      - 0
    .max_flat_workgroup_size: 64
    .name:           _Z6kernelI6reduceILN6hipcub20BlockReduceAlgorithmE2EEdLj64ELj2ELj100EEvPKT0_PS4_
    .private_segment_fixed_size: 0
    .sgpr_count:     18
    .sgpr_spill_count: 0
    .symbol:         _Z6kernelI6reduceILN6hipcub20BlockReduceAlgorithmE2EEdLj64ELj2ELj100EEvPKT0_PS4_.kd
    .uniform_work_group_size: 1
    .uses_dynamic_stack: false
    .vgpr_count:     9
    .vgpr_spill_count: 0
    .wavefront_size: 32
    .workgroup_processor_mode: 1
  - .args:
      - .address_space:  global
        .offset:         0
        .size:           8
        .value_kind:     global_buffer
      - .address_space:  global
        .offset:         8
        .size:           8
        .value_kind:     global_buffer
      - .offset:         16
        .size:           4
        .value_kind:     hidden_block_count_x
      - .offset:         20
        .size:           4
        .value_kind:     hidden_block_count_y
      - .offset:         24
        .size:           4
        .value_kind:     hidden_block_count_z
      - .offset:         28
        .size:           2
        .value_kind:     hidden_group_size_x
      - .offset:         30
        .size:           2
        .value_kind:     hidden_group_size_y
      - .offset:         32
        .size:           2
        .value_kind:     hidden_group_size_z
      - .offset:         34
        .size:           2
        .value_kind:     hidden_remainder_x
      - .offset:         36
        .size:           2
        .value_kind:     hidden_remainder_y
      - .offset:         38
        .size:           2
        .value_kind:     hidden_remainder_z
      - .offset:         56
        .size:           8
        .value_kind:     hidden_global_offset_x
      - .offset:         64
        .size:           8
        .value_kind:     hidden_global_offset_y
      - .offset:         72
        .size:           8
        .value_kind:     hidden_global_offset_z
      - .offset:         80
        .size:           2
        .value_kind:     hidden_grid_dims
    .group_segment_fixed_size: 512
    .kernarg_segment_align: 8
    .kernarg_segment_size: 272
    .language:       OpenCL C
    .language_version:
      - 2
      - 0
    .max_flat_workgroup_size: 64
    .name:           _Z6kernelI6reduceILN6hipcub20BlockReduceAlgorithmE2EEdLj64ELj3ELj100EEvPKT0_PS4_
    .private_segment_fixed_size: 0
    .sgpr_count:     18
    .sgpr_spill_count: 0
    .symbol:         _Z6kernelI6reduceILN6hipcub20BlockReduceAlgorithmE2EEdLj64ELj3ELj100EEvPKT0_PS4_.kd
    .uniform_work_group_size: 1
    .uses_dynamic_stack: false
    .vgpr_count:     11
    .vgpr_spill_count: 0
    .wavefront_size: 32
    .workgroup_processor_mode: 1
  - .args:
      - .address_space:  global
        .offset:         0
        .size:           8
        .value_kind:     global_buffer
      - .address_space:  global
        .offset:         8
        .size:           8
        .value_kind:     global_buffer
      - .offset:         16
        .size:           4
        .value_kind:     hidden_block_count_x
      - .offset:         20
        .size:           4
        .value_kind:     hidden_block_count_y
      - .offset:         24
        .size:           4
        .value_kind:     hidden_block_count_z
      - .offset:         28
        .size:           2
        .value_kind:     hidden_group_size_x
      - .offset:         30
        .size:           2
        .value_kind:     hidden_group_size_y
      - .offset:         32
        .size:           2
        .value_kind:     hidden_group_size_z
      - .offset:         34
        .size:           2
        .value_kind:     hidden_remainder_x
      - .offset:         36
        .size:           2
        .value_kind:     hidden_remainder_y
      - .offset:         38
        .size:           2
        .value_kind:     hidden_remainder_z
      - .offset:         56
        .size:           8
        .value_kind:     hidden_global_offset_x
      - .offset:         64
        .size:           8
        .value_kind:     hidden_global_offset_y
      - .offset:         72
        .size:           8
        .value_kind:     hidden_global_offset_z
      - .offset:         80
        .size:           2
        .value_kind:     hidden_grid_dims
    .group_segment_fixed_size: 512
    .kernarg_segment_align: 8
    .kernarg_segment_size: 272
    .language:       OpenCL C
    .language_version:
      - 2
      - 0
    .max_flat_workgroup_size: 64
    .name:           _Z6kernelI6reduceILN6hipcub20BlockReduceAlgorithmE2EEdLj64ELj4ELj100EEvPKT0_PS4_
    .private_segment_fixed_size: 0
    .sgpr_count:     18
    .sgpr_spill_count: 0
    .symbol:         _Z6kernelI6reduceILN6hipcub20BlockReduceAlgorithmE2EEdLj64ELj4ELj100EEvPKT0_PS4_.kd
    .uniform_work_group_size: 1
    .uses_dynamic_stack: false
    .vgpr_count:     13
    .vgpr_spill_count: 0
    .wavefront_size: 32
    .workgroup_processor_mode: 1
  - .args:
      - .address_space:  global
        .offset:         0
        .size:           8
        .value_kind:     global_buffer
      - .address_space:  global
        .offset:         8
        .size:           8
        .value_kind:     global_buffer
      - .offset:         16
        .size:           4
        .value_kind:     hidden_block_count_x
      - .offset:         20
        .size:           4
        .value_kind:     hidden_block_count_y
      - .offset:         24
        .size:           4
        .value_kind:     hidden_block_count_z
      - .offset:         28
        .size:           2
        .value_kind:     hidden_group_size_x
      - .offset:         30
        .size:           2
        .value_kind:     hidden_group_size_y
      - .offset:         32
        .size:           2
        .value_kind:     hidden_group_size_z
      - .offset:         34
        .size:           2
        .value_kind:     hidden_remainder_x
      - .offset:         36
        .size:           2
        .value_kind:     hidden_remainder_y
      - .offset:         38
        .size:           2
        .value_kind:     hidden_remainder_z
      - .offset:         56
        .size:           8
        .value_kind:     hidden_global_offset_x
      - .offset:         64
        .size:           8
        .value_kind:     hidden_global_offset_y
      - .offset:         72
        .size:           8
        .value_kind:     hidden_global_offset_z
      - .offset:         80
        .size:           2
        .value_kind:     hidden_grid_dims
    .group_segment_fixed_size: 512
    .kernarg_segment_align: 8
    .kernarg_segment_size: 272
    .language:       OpenCL C
    .language_version:
      - 2
      - 0
    .max_flat_workgroup_size: 64
    .name:           _Z6kernelI6reduceILN6hipcub20BlockReduceAlgorithmE2EEdLj64ELj8ELj100EEvPKT0_PS4_
    .private_segment_fixed_size: 0
    .sgpr_count:     18
    .sgpr_spill_count: 0
    .symbol:         _Z6kernelI6reduceILN6hipcub20BlockReduceAlgorithmE2EEdLj64ELj8ELj100EEvPKT0_PS4_.kd
    .uniform_work_group_size: 1
    .uses_dynamic_stack: false
    .vgpr_count:     21
    .vgpr_spill_count: 0
    .wavefront_size: 32
    .workgroup_processor_mode: 1
  - .args:
      - .address_space:  global
        .offset:         0
        .size:           8
        .value_kind:     global_buffer
      - .address_space:  global
        .offset:         8
        .size:           8
        .value_kind:     global_buffer
      - .offset:         16
        .size:           4
        .value_kind:     hidden_block_count_x
      - .offset:         20
        .size:           4
        .value_kind:     hidden_block_count_y
      - .offset:         24
        .size:           4
        .value_kind:     hidden_block_count_z
      - .offset:         28
        .size:           2
        .value_kind:     hidden_group_size_x
      - .offset:         30
        .size:           2
        .value_kind:     hidden_group_size_y
      - .offset:         32
        .size:           2
        .value_kind:     hidden_group_size_z
      - .offset:         34
        .size:           2
        .value_kind:     hidden_remainder_x
      - .offset:         36
        .size:           2
        .value_kind:     hidden_remainder_y
      - .offset:         38
        .size:           2
        .value_kind:     hidden_remainder_z
      - .offset:         56
        .size:           8
        .value_kind:     hidden_global_offset_x
      - .offset:         64
        .size:           8
        .value_kind:     hidden_global_offset_y
      - .offset:         72
        .size:           8
        .value_kind:     hidden_global_offset_z
      - .offset:         80
        .size:           2
        .value_kind:     hidden_grid_dims
    .group_segment_fixed_size: 512
    .kernarg_segment_align: 8
    .kernarg_segment_size: 272
    .language:       OpenCL C
    .language_version:
      - 2
      - 0
    .max_flat_workgroup_size: 64
    .name:           _Z6kernelI6reduceILN6hipcub20BlockReduceAlgorithmE2EEdLj64ELj11ELj100EEvPKT0_PS4_
    .private_segment_fixed_size: 0
    .sgpr_count:     18
    .sgpr_spill_count: 0
    .symbol:         _Z6kernelI6reduceILN6hipcub20BlockReduceAlgorithmE2EEdLj64ELj11ELj100EEvPKT0_PS4_.kd
    .uniform_work_group_size: 1
    .uses_dynamic_stack: false
    .vgpr_count:     27
    .vgpr_spill_count: 0
    .wavefront_size: 32
    .workgroup_processor_mode: 1
  - .args:
      - .address_space:  global
        .offset:         0
        .size:           8
        .value_kind:     global_buffer
      - .address_space:  global
        .offset:         8
        .size:           8
        .value_kind:     global_buffer
      - .offset:         16
        .size:           4
        .value_kind:     hidden_block_count_x
      - .offset:         20
        .size:           4
        .value_kind:     hidden_block_count_y
      - .offset:         24
        .size:           4
        .value_kind:     hidden_block_count_z
      - .offset:         28
        .size:           2
        .value_kind:     hidden_group_size_x
      - .offset:         30
        .size:           2
        .value_kind:     hidden_group_size_y
      - .offset:         32
        .size:           2
        .value_kind:     hidden_group_size_z
      - .offset:         34
        .size:           2
        .value_kind:     hidden_remainder_x
      - .offset:         36
        .size:           2
        .value_kind:     hidden_remainder_y
      - .offset:         38
        .size:           2
        .value_kind:     hidden_remainder_z
      - .offset:         56
        .size:           8
        .value_kind:     hidden_global_offset_x
      - .offset:         64
        .size:           8
        .value_kind:     hidden_global_offset_y
      - .offset:         72
        .size:           8
        .value_kind:     hidden_global_offset_z
      - .offset:         80
        .size:           2
        .value_kind:     hidden_grid_dims
    .group_segment_fixed_size: 512
    .kernarg_segment_align: 8
    .kernarg_segment_size: 272
    .language:       OpenCL C
    .language_version:
      - 2
      - 0
    .max_flat_workgroup_size: 64
    .name:           _Z6kernelI6reduceILN6hipcub20BlockReduceAlgorithmE2EEdLj64ELj16ELj100EEvPKT0_PS4_
    .private_segment_fixed_size: 0
    .sgpr_count:     18
    .sgpr_spill_count: 0
    .symbol:         _Z6kernelI6reduceILN6hipcub20BlockReduceAlgorithmE2EEdLj64ELj16ELj100EEvPKT0_PS4_.kd
    .uniform_work_group_size: 1
    .uses_dynamic_stack: false
    .vgpr_count:     37
    .vgpr_spill_count: 0
    .wavefront_size: 32
    .workgroup_processor_mode: 1
  - .args:
      - .address_space:  global
        .offset:         0
        .size:           8
        .value_kind:     global_buffer
      - .address_space:  global
        .offset:         8
        .size:           8
        .value_kind:     global_buffer
      - .offset:         16
        .size:           4
        .value_kind:     hidden_block_count_x
      - .offset:         20
        .size:           4
        .value_kind:     hidden_block_count_y
      - .offset:         24
        .size:           4
        .value_kind:     hidden_block_count_z
      - .offset:         28
        .size:           2
        .value_kind:     hidden_group_size_x
      - .offset:         30
        .size:           2
        .value_kind:     hidden_group_size_y
      - .offset:         32
        .size:           2
        .value_kind:     hidden_group_size_z
      - .offset:         34
        .size:           2
        .value_kind:     hidden_remainder_x
      - .offset:         36
        .size:           2
        .value_kind:     hidden_remainder_y
      - .offset:         38
        .size:           2
        .value_kind:     hidden_remainder_z
      - .offset:         56
        .size:           8
        .value_kind:     hidden_global_offset_x
      - .offset:         64
        .size:           8
        .value_kind:     hidden_global_offset_y
      - .offset:         72
        .size:           8
        .value_kind:     hidden_global_offset_z
      - .offset:         80
        .size:           2
        .value_kind:     hidden_grid_dims
    .group_segment_fixed_size: 64
    .kernarg_segment_align: 8
    .kernarg_segment_size: 272
    .language:       OpenCL C
    .language_version:
      - 2
      - 0
    .max_flat_workgroup_size: 64
    .name:           _Z6kernelI6reduceILN6hipcub20BlockReduceAlgorithmE2EEaLj64ELj1ELj100EEvPKT0_PS4_
    .private_segment_fixed_size: 0
    .sgpr_count:     16
    .sgpr_spill_count: 0
    .symbol:         _Z6kernelI6reduceILN6hipcub20BlockReduceAlgorithmE2EEaLj64ELj1ELj100EEvPKT0_PS4_.kd
    .uniform_work_group_size: 1
    .uses_dynamic_stack: false
    .vgpr_count:     4
    .vgpr_spill_count: 0
    .wavefront_size: 32
    .workgroup_processor_mode: 1
  - .args:
      - .address_space:  global
        .offset:         0
        .size:           8
        .value_kind:     global_buffer
      - .address_space:  global
        .offset:         8
        .size:           8
        .value_kind:     global_buffer
      - .offset:         16
        .size:           4
        .value_kind:     hidden_block_count_x
      - .offset:         20
        .size:           4
        .value_kind:     hidden_block_count_y
      - .offset:         24
        .size:           4
        .value_kind:     hidden_block_count_z
      - .offset:         28
        .size:           2
        .value_kind:     hidden_group_size_x
      - .offset:         30
        .size:           2
        .value_kind:     hidden_group_size_y
      - .offset:         32
        .size:           2
        .value_kind:     hidden_group_size_z
      - .offset:         34
        .size:           2
        .value_kind:     hidden_remainder_x
      - .offset:         36
        .size:           2
        .value_kind:     hidden_remainder_y
      - .offset:         38
        .size:           2
        .value_kind:     hidden_remainder_z
      - .offset:         56
        .size:           8
        .value_kind:     hidden_global_offset_x
      - .offset:         64
        .size:           8
        .value_kind:     hidden_global_offset_y
      - .offset:         72
        .size:           8
        .value_kind:     hidden_global_offset_z
      - .offset:         80
        .size:           2
        .value_kind:     hidden_grid_dims
    .group_segment_fixed_size: 64
    .kernarg_segment_align: 8
    .kernarg_segment_size: 272
    .language:       OpenCL C
    .language_version:
      - 2
      - 0
    .max_flat_workgroup_size: 64
    .name:           _Z6kernelI6reduceILN6hipcub20BlockReduceAlgorithmE2EEaLj64ELj2ELj100EEvPKT0_PS4_
    .private_segment_fixed_size: 0
    .sgpr_count:     16
    .sgpr_spill_count: 0
    .symbol:         _Z6kernelI6reduceILN6hipcub20BlockReduceAlgorithmE2EEaLj64ELj2ELj100EEvPKT0_PS4_.kd
    .uniform_work_group_size: 1
    .uses_dynamic_stack: false
    .vgpr_count:     5
    .vgpr_spill_count: 0
    .wavefront_size: 32
    .workgroup_processor_mode: 1
  - .args:
      - .address_space:  global
        .offset:         0
        .size:           8
        .value_kind:     global_buffer
      - .address_space:  global
        .offset:         8
        .size:           8
        .value_kind:     global_buffer
      - .offset:         16
        .size:           4
        .value_kind:     hidden_block_count_x
      - .offset:         20
        .size:           4
        .value_kind:     hidden_block_count_y
      - .offset:         24
        .size:           4
        .value_kind:     hidden_block_count_z
      - .offset:         28
        .size:           2
        .value_kind:     hidden_group_size_x
      - .offset:         30
        .size:           2
        .value_kind:     hidden_group_size_y
      - .offset:         32
        .size:           2
        .value_kind:     hidden_group_size_z
      - .offset:         34
        .size:           2
        .value_kind:     hidden_remainder_x
      - .offset:         36
        .size:           2
        .value_kind:     hidden_remainder_y
      - .offset:         38
        .size:           2
        .value_kind:     hidden_remainder_z
      - .offset:         56
        .size:           8
        .value_kind:     hidden_global_offset_x
      - .offset:         64
        .size:           8
        .value_kind:     hidden_global_offset_y
      - .offset:         72
        .size:           8
        .value_kind:     hidden_global_offset_z
      - .offset:         80
        .size:           2
        .value_kind:     hidden_grid_dims
    .group_segment_fixed_size: 64
    .kernarg_segment_align: 8
    .kernarg_segment_size: 272
    .language:       OpenCL C
    .language_version:
      - 2
      - 0
    .max_flat_workgroup_size: 64
    .name:           _Z6kernelI6reduceILN6hipcub20BlockReduceAlgorithmE2EEaLj64ELj3ELj100EEvPKT0_PS4_
    .private_segment_fixed_size: 0
    .sgpr_count:     16
    .sgpr_spill_count: 0
    .symbol:         _Z6kernelI6reduceILN6hipcub20BlockReduceAlgorithmE2EEaLj64ELj3ELj100EEvPKT0_PS4_.kd
    .uniform_work_group_size: 1
    .uses_dynamic_stack: false
    .vgpr_count:     7
    .vgpr_spill_count: 0
    .wavefront_size: 32
    .workgroup_processor_mode: 1
  - .args:
      - .address_space:  global
        .offset:         0
        .size:           8
        .value_kind:     global_buffer
      - .address_space:  global
        .offset:         8
        .size:           8
        .value_kind:     global_buffer
      - .offset:         16
        .size:           4
        .value_kind:     hidden_block_count_x
      - .offset:         20
        .size:           4
        .value_kind:     hidden_block_count_y
      - .offset:         24
        .size:           4
        .value_kind:     hidden_block_count_z
      - .offset:         28
        .size:           2
        .value_kind:     hidden_group_size_x
      - .offset:         30
        .size:           2
        .value_kind:     hidden_group_size_y
      - .offset:         32
        .size:           2
        .value_kind:     hidden_group_size_z
      - .offset:         34
        .size:           2
        .value_kind:     hidden_remainder_x
      - .offset:         36
        .size:           2
        .value_kind:     hidden_remainder_y
      - .offset:         38
        .size:           2
        .value_kind:     hidden_remainder_z
      - .offset:         56
        .size:           8
        .value_kind:     hidden_global_offset_x
      - .offset:         64
        .size:           8
        .value_kind:     hidden_global_offset_y
      - .offset:         72
        .size:           8
        .value_kind:     hidden_global_offset_z
      - .offset:         80
        .size:           2
        .value_kind:     hidden_grid_dims
    .group_segment_fixed_size: 64
    .kernarg_segment_align: 8
    .kernarg_segment_size: 272
    .language:       OpenCL C
    .language_version:
      - 2
      - 0
    .max_flat_workgroup_size: 64
    .name:           _Z6kernelI6reduceILN6hipcub20BlockReduceAlgorithmE2EEaLj64ELj4ELj100EEvPKT0_PS4_
    .private_segment_fixed_size: 0
    .sgpr_count:     16
    .sgpr_spill_count: 0
    .symbol:         _Z6kernelI6reduceILN6hipcub20BlockReduceAlgorithmE2EEaLj64ELj4ELj100EEvPKT0_PS4_.kd
    .uniform_work_group_size: 1
    .uses_dynamic_stack: false
    .vgpr_count:     7
    .vgpr_spill_count: 0
    .wavefront_size: 32
    .workgroup_processor_mode: 1
  - .args:
      - .address_space:  global
        .offset:         0
        .size:           8
        .value_kind:     global_buffer
      - .address_space:  global
        .offset:         8
        .size:           8
        .value_kind:     global_buffer
      - .offset:         16
        .size:           4
        .value_kind:     hidden_block_count_x
      - .offset:         20
        .size:           4
        .value_kind:     hidden_block_count_y
      - .offset:         24
        .size:           4
        .value_kind:     hidden_block_count_z
      - .offset:         28
        .size:           2
        .value_kind:     hidden_group_size_x
      - .offset:         30
        .size:           2
        .value_kind:     hidden_group_size_y
      - .offset:         32
        .size:           2
        .value_kind:     hidden_group_size_z
      - .offset:         34
        .size:           2
        .value_kind:     hidden_remainder_x
      - .offset:         36
        .size:           2
        .value_kind:     hidden_remainder_y
      - .offset:         38
        .size:           2
        .value_kind:     hidden_remainder_z
      - .offset:         56
        .size:           8
        .value_kind:     hidden_global_offset_x
      - .offset:         64
        .size:           8
        .value_kind:     hidden_global_offset_y
      - .offset:         72
        .size:           8
        .value_kind:     hidden_global_offset_z
      - .offset:         80
        .size:           2
        .value_kind:     hidden_grid_dims
    .group_segment_fixed_size: 64
    .kernarg_segment_align: 8
    .kernarg_segment_size: 272
    .language:       OpenCL C
    .language_version:
      - 2
      - 0
    .max_flat_workgroup_size: 64
    .name:           _Z6kernelI6reduceILN6hipcub20BlockReduceAlgorithmE2EEaLj64ELj8ELj100EEvPKT0_PS4_
    .private_segment_fixed_size: 0
    .sgpr_count:     16
    .sgpr_spill_count: 0
    .symbol:         _Z6kernelI6reduceILN6hipcub20BlockReduceAlgorithmE2EEaLj64ELj8ELj100EEvPKT0_PS4_.kd
    .uniform_work_group_size: 1
    .uses_dynamic_stack: false
    .vgpr_count:     8
    .vgpr_spill_count: 0
    .wavefront_size: 32
    .workgroup_processor_mode: 1
  - .args:
      - .address_space:  global
        .offset:         0
        .size:           8
        .value_kind:     global_buffer
      - .address_space:  global
        .offset:         8
        .size:           8
        .value_kind:     global_buffer
      - .offset:         16
        .size:           4
        .value_kind:     hidden_block_count_x
      - .offset:         20
        .size:           4
        .value_kind:     hidden_block_count_y
      - .offset:         24
        .size:           4
        .value_kind:     hidden_block_count_z
      - .offset:         28
        .size:           2
        .value_kind:     hidden_group_size_x
      - .offset:         30
        .size:           2
        .value_kind:     hidden_group_size_y
      - .offset:         32
        .size:           2
        .value_kind:     hidden_group_size_z
      - .offset:         34
        .size:           2
        .value_kind:     hidden_remainder_x
      - .offset:         36
        .size:           2
        .value_kind:     hidden_remainder_y
      - .offset:         38
        .size:           2
        .value_kind:     hidden_remainder_z
      - .offset:         56
        .size:           8
        .value_kind:     hidden_global_offset_x
      - .offset:         64
        .size:           8
        .value_kind:     hidden_global_offset_y
      - .offset:         72
        .size:           8
        .value_kind:     hidden_global_offset_z
      - .offset:         80
        .size:           2
        .value_kind:     hidden_grid_dims
    .group_segment_fixed_size: 64
    .kernarg_segment_align: 8
    .kernarg_segment_size: 272
    .language:       OpenCL C
    .language_version:
      - 2
      - 0
    .max_flat_workgroup_size: 64
    .name:           _Z6kernelI6reduceILN6hipcub20BlockReduceAlgorithmE2EEaLj64ELj11ELj100EEvPKT0_PS4_
    .private_segment_fixed_size: 0
    .sgpr_count:     16
    .sgpr_spill_count: 0
    .symbol:         _Z6kernelI6reduceILN6hipcub20BlockReduceAlgorithmE2EEaLj64ELj11ELj100EEvPKT0_PS4_.kd
    .uniform_work_group_size: 1
    .uses_dynamic_stack: false
    .vgpr_count:     13
    .vgpr_spill_count: 0
    .wavefront_size: 32
    .workgroup_processor_mode: 1
  - .args:
      - .address_space:  global
        .offset:         0
        .size:           8
        .value_kind:     global_buffer
      - .address_space:  global
        .offset:         8
        .size:           8
        .value_kind:     global_buffer
      - .offset:         16
        .size:           4
        .value_kind:     hidden_block_count_x
      - .offset:         20
        .size:           4
        .value_kind:     hidden_block_count_y
      - .offset:         24
        .size:           4
        .value_kind:     hidden_block_count_z
      - .offset:         28
        .size:           2
        .value_kind:     hidden_group_size_x
      - .offset:         30
        .size:           2
        .value_kind:     hidden_group_size_y
      - .offset:         32
        .size:           2
        .value_kind:     hidden_group_size_z
      - .offset:         34
        .size:           2
        .value_kind:     hidden_remainder_x
      - .offset:         36
        .size:           2
        .value_kind:     hidden_remainder_y
      - .offset:         38
        .size:           2
        .value_kind:     hidden_remainder_z
      - .offset:         56
        .size:           8
        .value_kind:     hidden_global_offset_x
      - .offset:         64
        .size:           8
        .value_kind:     hidden_global_offset_y
      - .offset:         72
        .size:           8
        .value_kind:     hidden_global_offset_z
      - .offset:         80
        .size:           2
        .value_kind:     hidden_grid_dims
    .group_segment_fixed_size: 64
    .kernarg_segment_align: 8
    .kernarg_segment_size: 272
    .language:       OpenCL C
    .language_version:
      - 2
      - 0
    .max_flat_workgroup_size: 64
    .name:           _Z6kernelI6reduceILN6hipcub20BlockReduceAlgorithmE2EEaLj64ELj16ELj100EEvPKT0_PS4_
    .private_segment_fixed_size: 0
    .sgpr_count:     16
    .sgpr_spill_count: 0
    .symbol:         _Z6kernelI6reduceILN6hipcub20BlockReduceAlgorithmE2EEaLj64ELj16ELj100EEvPKT0_PS4_.kd
    .uniform_work_group_size: 1
    .uses_dynamic_stack: false
    .vgpr_count:     13
    .vgpr_spill_count: 0
    .wavefront_size: 32
    .workgroup_processor_mode: 1
  - .args:
      - .address_space:  global
        .offset:         0
        .size:           8
        .value_kind:     global_buffer
      - .address_space:  global
        .offset:         8
        .size:           8
        .value_kind:     global_buffer
      - .offset:         16
        .size:           4
        .value_kind:     hidden_block_count_x
      - .offset:         20
        .size:           4
        .value_kind:     hidden_block_count_y
      - .offset:         24
        .size:           4
        .value_kind:     hidden_block_count_z
      - .offset:         28
        .size:           2
        .value_kind:     hidden_group_size_x
      - .offset:         30
        .size:           2
        .value_kind:     hidden_group_size_y
      - .offset:         32
        .size:           2
        .value_kind:     hidden_group_size_z
      - .offset:         34
        .size:           2
        .value_kind:     hidden_remainder_x
      - .offset:         36
        .size:           2
        .value_kind:     hidden_remainder_y
      - .offset:         38
        .size:           2
        .value_kind:     hidden_remainder_z
      - .offset:         56
        .size:           8
        .value_kind:     hidden_global_offset_x
      - .offset:         64
        .size:           8
        .value_kind:     hidden_global_offset_y
      - .offset:         72
        .size:           8
        .value_kind:     hidden_global_offset_z
      - .offset:         80
        .size:           2
        .value_kind:     hidden_grid_dims
    .group_segment_fixed_size: 64
    .kernarg_segment_align: 8
    .kernarg_segment_size: 272
    .language:       OpenCL C
    .language_version:
      - 2
      - 0
    .max_flat_workgroup_size: 64
    .name:           _Z6kernelI6reduceILN6hipcub20BlockReduceAlgorithmE2EEhLj64ELj1ELj100EEvPKT0_PS4_
    .private_segment_fixed_size: 0
    .sgpr_count:     16
    .sgpr_spill_count: 0
    .symbol:         _Z6kernelI6reduceILN6hipcub20BlockReduceAlgorithmE2EEhLj64ELj1ELj100EEvPKT0_PS4_.kd
    .uniform_work_group_size: 1
    .uses_dynamic_stack: false
    .vgpr_count:     4
    .vgpr_spill_count: 0
    .wavefront_size: 32
    .workgroup_processor_mode: 1
  - .args:
      - .address_space:  global
        .offset:         0
        .size:           8
        .value_kind:     global_buffer
      - .address_space:  global
        .offset:         8
        .size:           8
        .value_kind:     global_buffer
      - .offset:         16
        .size:           4
        .value_kind:     hidden_block_count_x
      - .offset:         20
        .size:           4
        .value_kind:     hidden_block_count_y
      - .offset:         24
        .size:           4
        .value_kind:     hidden_block_count_z
      - .offset:         28
        .size:           2
        .value_kind:     hidden_group_size_x
      - .offset:         30
        .size:           2
        .value_kind:     hidden_group_size_y
      - .offset:         32
        .size:           2
        .value_kind:     hidden_group_size_z
      - .offset:         34
        .size:           2
        .value_kind:     hidden_remainder_x
      - .offset:         36
        .size:           2
        .value_kind:     hidden_remainder_y
      - .offset:         38
        .size:           2
        .value_kind:     hidden_remainder_z
      - .offset:         56
        .size:           8
        .value_kind:     hidden_global_offset_x
      - .offset:         64
        .size:           8
        .value_kind:     hidden_global_offset_y
      - .offset:         72
        .size:           8
        .value_kind:     hidden_global_offset_z
      - .offset:         80
        .size:           2
        .value_kind:     hidden_grid_dims
    .group_segment_fixed_size: 64
    .kernarg_segment_align: 8
    .kernarg_segment_size: 272
    .language:       OpenCL C
    .language_version:
      - 2
      - 0
    .max_flat_workgroup_size: 64
    .name:           _Z6kernelI6reduceILN6hipcub20BlockReduceAlgorithmE2EEhLj64ELj2ELj100EEvPKT0_PS4_
    .private_segment_fixed_size: 0
    .sgpr_count:     16
    .sgpr_spill_count: 0
    .symbol:         _Z6kernelI6reduceILN6hipcub20BlockReduceAlgorithmE2EEhLj64ELj2ELj100EEvPKT0_PS4_.kd
    .uniform_work_group_size: 1
    .uses_dynamic_stack: false
    .vgpr_count:     5
    .vgpr_spill_count: 0
    .wavefront_size: 32
    .workgroup_processor_mode: 1
  - .args:
      - .address_space:  global
        .offset:         0
        .size:           8
        .value_kind:     global_buffer
      - .address_space:  global
        .offset:         8
        .size:           8
        .value_kind:     global_buffer
      - .offset:         16
        .size:           4
        .value_kind:     hidden_block_count_x
      - .offset:         20
        .size:           4
        .value_kind:     hidden_block_count_y
      - .offset:         24
        .size:           4
        .value_kind:     hidden_block_count_z
      - .offset:         28
        .size:           2
        .value_kind:     hidden_group_size_x
      - .offset:         30
        .size:           2
        .value_kind:     hidden_group_size_y
      - .offset:         32
        .size:           2
        .value_kind:     hidden_group_size_z
      - .offset:         34
        .size:           2
        .value_kind:     hidden_remainder_x
      - .offset:         36
        .size:           2
        .value_kind:     hidden_remainder_y
      - .offset:         38
        .size:           2
        .value_kind:     hidden_remainder_z
      - .offset:         56
        .size:           8
        .value_kind:     hidden_global_offset_x
      - .offset:         64
        .size:           8
        .value_kind:     hidden_global_offset_y
      - .offset:         72
        .size:           8
        .value_kind:     hidden_global_offset_z
      - .offset:         80
        .size:           2
        .value_kind:     hidden_grid_dims
    .group_segment_fixed_size: 64
    .kernarg_segment_align: 8
    .kernarg_segment_size: 272
    .language:       OpenCL C
    .language_version:
      - 2
      - 0
    .max_flat_workgroup_size: 64
    .name:           _Z6kernelI6reduceILN6hipcub20BlockReduceAlgorithmE2EEhLj64ELj3ELj100EEvPKT0_PS4_
    .private_segment_fixed_size: 0
    .sgpr_count:     16
    .sgpr_spill_count: 0
    .symbol:         _Z6kernelI6reduceILN6hipcub20BlockReduceAlgorithmE2EEhLj64ELj3ELj100EEvPKT0_PS4_.kd
    .uniform_work_group_size: 1
    .uses_dynamic_stack: false
    .vgpr_count:     7
    .vgpr_spill_count: 0
    .wavefront_size: 32
    .workgroup_processor_mode: 1
  - .args:
      - .address_space:  global
        .offset:         0
        .size:           8
        .value_kind:     global_buffer
      - .address_space:  global
        .offset:         8
        .size:           8
        .value_kind:     global_buffer
      - .offset:         16
        .size:           4
        .value_kind:     hidden_block_count_x
      - .offset:         20
        .size:           4
        .value_kind:     hidden_block_count_y
      - .offset:         24
        .size:           4
        .value_kind:     hidden_block_count_z
      - .offset:         28
        .size:           2
        .value_kind:     hidden_group_size_x
      - .offset:         30
        .size:           2
        .value_kind:     hidden_group_size_y
      - .offset:         32
        .size:           2
        .value_kind:     hidden_group_size_z
      - .offset:         34
        .size:           2
        .value_kind:     hidden_remainder_x
      - .offset:         36
        .size:           2
        .value_kind:     hidden_remainder_y
      - .offset:         38
        .size:           2
        .value_kind:     hidden_remainder_z
      - .offset:         56
        .size:           8
        .value_kind:     hidden_global_offset_x
      - .offset:         64
        .size:           8
        .value_kind:     hidden_global_offset_y
      - .offset:         72
        .size:           8
        .value_kind:     hidden_global_offset_z
      - .offset:         80
        .size:           2
        .value_kind:     hidden_grid_dims
    .group_segment_fixed_size: 64
    .kernarg_segment_align: 8
    .kernarg_segment_size: 272
    .language:       OpenCL C
    .language_version:
      - 2
      - 0
    .max_flat_workgroup_size: 64
    .name:           _Z6kernelI6reduceILN6hipcub20BlockReduceAlgorithmE2EEhLj64ELj4ELj100EEvPKT0_PS4_
    .private_segment_fixed_size: 0
    .sgpr_count:     16
    .sgpr_spill_count: 0
    .symbol:         _Z6kernelI6reduceILN6hipcub20BlockReduceAlgorithmE2EEhLj64ELj4ELj100EEvPKT0_PS4_.kd
    .uniform_work_group_size: 1
    .uses_dynamic_stack: false
    .vgpr_count:     7
    .vgpr_spill_count: 0
    .wavefront_size: 32
    .workgroup_processor_mode: 1
  - .args:
      - .address_space:  global
        .offset:         0
        .size:           8
        .value_kind:     global_buffer
      - .address_space:  global
        .offset:         8
        .size:           8
        .value_kind:     global_buffer
      - .offset:         16
        .size:           4
        .value_kind:     hidden_block_count_x
      - .offset:         20
        .size:           4
        .value_kind:     hidden_block_count_y
      - .offset:         24
        .size:           4
        .value_kind:     hidden_block_count_z
      - .offset:         28
        .size:           2
        .value_kind:     hidden_group_size_x
      - .offset:         30
        .size:           2
        .value_kind:     hidden_group_size_y
      - .offset:         32
        .size:           2
        .value_kind:     hidden_group_size_z
      - .offset:         34
        .size:           2
        .value_kind:     hidden_remainder_x
      - .offset:         36
        .size:           2
        .value_kind:     hidden_remainder_y
      - .offset:         38
        .size:           2
        .value_kind:     hidden_remainder_z
      - .offset:         56
        .size:           8
        .value_kind:     hidden_global_offset_x
      - .offset:         64
        .size:           8
        .value_kind:     hidden_global_offset_y
      - .offset:         72
        .size:           8
        .value_kind:     hidden_global_offset_z
      - .offset:         80
        .size:           2
        .value_kind:     hidden_grid_dims
    .group_segment_fixed_size: 64
    .kernarg_segment_align: 8
    .kernarg_segment_size: 272
    .language:       OpenCL C
    .language_version:
      - 2
      - 0
    .max_flat_workgroup_size: 64
    .name:           _Z6kernelI6reduceILN6hipcub20BlockReduceAlgorithmE2EEhLj64ELj8ELj100EEvPKT0_PS4_
    .private_segment_fixed_size: 0
    .sgpr_count:     16
    .sgpr_spill_count: 0
    .symbol:         _Z6kernelI6reduceILN6hipcub20BlockReduceAlgorithmE2EEhLj64ELj8ELj100EEvPKT0_PS4_.kd
    .uniform_work_group_size: 1
    .uses_dynamic_stack: false
    .vgpr_count:     8
    .vgpr_spill_count: 0
    .wavefront_size: 32
    .workgroup_processor_mode: 1
  - .args:
      - .address_space:  global
        .offset:         0
        .size:           8
        .value_kind:     global_buffer
      - .address_space:  global
        .offset:         8
        .size:           8
        .value_kind:     global_buffer
      - .offset:         16
        .size:           4
        .value_kind:     hidden_block_count_x
      - .offset:         20
        .size:           4
        .value_kind:     hidden_block_count_y
      - .offset:         24
        .size:           4
        .value_kind:     hidden_block_count_z
      - .offset:         28
        .size:           2
        .value_kind:     hidden_group_size_x
      - .offset:         30
        .size:           2
        .value_kind:     hidden_group_size_y
      - .offset:         32
        .size:           2
        .value_kind:     hidden_group_size_z
      - .offset:         34
        .size:           2
        .value_kind:     hidden_remainder_x
      - .offset:         36
        .size:           2
        .value_kind:     hidden_remainder_y
      - .offset:         38
        .size:           2
        .value_kind:     hidden_remainder_z
      - .offset:         56
        .size:           8
        .value_kind:     hidden_global_offset_x
      - .offset:         64
        .size:           8
        .value_kind:     hidden_global_offset_y
      - .offset:         72
        .size:           8
        .value_kind:     hidden_global_offset_z
      - .offset:         80
        .size:           2
        .value_kind:     hidden_grid_dims
    .group_segment_fixed_size: 64
    .kernarg_segment_align: 8
    .kernarg_segment_size: 272
    .language:       OpenCL C
    .language_version:
      - 2
      - 0
    .max_flat_workgroup_size: 64
    .name:           _Z6kernelI6reduceILN6hipcub20BlockReduceAlgorithmE2EEhLj64ELj11ELj100EEvPKT0_PS4_
    .private_segment_fixed_size: 0
    .sgpr_count:     16
    .sgpr_spill_count: 0
    .symbol:         _Z6kernelI6reduceILN6hipcub20BlockReduceAlgorithmE2EEhLj64ELj11ELj100EEvPKT0_PS4_.kd
    .uniform_work_group_size: 1
    .uses_dynamic_stack: false
    .vgpr_count:     13
    .vgpr_spill_count: 0
    .wavefront_size: 32
    .workgroup_processor_mode: 1
  - .args:
      - .address_space:  global
        .offset:         0
        .size:           8
        .value_kind:     global_buffer
      - .address_space:  global
        .offset:         8
        .size:           8
        .value_kind:     global_buffer
      - .offset:         16
        .size:           4
        .value_kind:     hidden_block_count_x
      - .offset:         20
        .size:           4
        .value_kind:     hidden_block_count_y
      - .offset:         24
        .size:           4
        .value_kind:     hidden_block_count_z
      - .offset:         28
        .size:           2
        .value_kind:     hidden_group_size_x
      - .offset:         30
        .size:           2
        .value_kind:     hidden_group_size_y
      - .offset:         32
        .size:           2
        .value_kind:     hidden_group_size_z
      - .offset:         34
        .size:           2
        .value_kind:     hidden_remainder_x
      - .offset:         36
        .size:           2
        .value_kind:     hidden_remainder_y
      - .offset:         38
        .size:           2
        .value_kind:     hidden_remainder_z
      - .offset:         56
        .size:           8
        .value_kind:     hidden_global_offset_x
      - .offset:         64
        .size:           8
        .value_kind:     hidden_global_offset_y
      - .offset:         72
        .size:           8
        .value_kind:     hidden_global_offset_z
      - .offset:         80
        .size:           2
        .value_kind:     hidden_grid_dims
    .group_segment_fixed_size: 64
    .kernarg_segment_align: 8
    .kernarg_segment_size: 272
    .language:       OpenCL C
    .language_version:
      - 2
      - 0
    .max_flat_workgroup_size: 64
    .name:           _Z6kernelI6reduceILN6hipcub20BlockReduceAlgorithmE2EEhLj64ELj16ELj100EEvPKT0_PS4_
    .private_segment_fixed_size: 0
    .sgpr_count:     16
    .sgpr_spill_count: 0
    .symbol:         _Z6kernelI6reduceILN6hipcub20BlockReduceAlgorithmE2EEhLj64ELj16ELj100EEvPKT0_PS4_.kd
    .uniform_work_group_size: 1
    .uses_dynamic_stack: false
    .vgpr_count:     13
    .vgpr_spill_count: 0
    .wavefront_size: 32
    .workgroup_processor_mode: 1
  - .args:
      - .address_space:  global
        .offset:         0
        .size:           8
        .value_kind:     global_buffer
      - .address_space:  global
        .offset:         8
        .size:           8
        .value_kind:     global_buffer
      - .offset:         16
        .size:           4
        .value_kind:     hidden_block_count_x
      - .offset:         20
        .size:           4
        .value_kind:     hidden_block_count_y
      - .offset:         24
        .size:           4
        .value_kind:     hidden_block_count_z
      - .offset:         28
        .size:           2
        .value_kind:     hidden_group_size_x
      - .offset:         30
        .size:           2
        .value_kind:     hidden_group_size_y
      - .offset:         32
        .size:           2
        .value_kind:     hidden_group_size_z
      - .offset:         34
        .size:           2
        .value_kind:     hidden_remainder_x
      - .offset:         36
        .size:           2
        .value_kind:     hidden_remainder_y
      - .offset:         38
        .size:           2
        .value_kind:     hidden_remainder_z
      - .offset:         56
        .size:           8
        .value_kind:     hidden_global_offset_x
      - .offset:         64
        .size:           8
        .value_kind:     hidden_global_offset_y
      - .offset:         72
        .size:           8
        .value_kind:     hidden_global_offset_z
      - .offset:         80
        .size:           2
        .value_kind:     hidden_grid_dims
    .group_segment_fixed_size: 1024
    .kernarg_segment_align: 8
    .kernarg_segment_size: 272
    .language:       OpenCL C
    .language_version:
      - 2
      - 0
    .max_flat_workgroup_size: 256
    .name:           _Z6kernelI6reduceILN6hipcub20BlockReduceAlgorithmE2EEiLj256ELj1ELj100EEvPKT0_PS4_
    .private_segment_fixed_size: 0
    .sgpr_count:     18
    .sgpr_spill_count: 0
    .symbol:         _Z6kernelI6reduceILN6hipcub20BlockReduceAlgorithmE2EEiLj256ELj1ELj100EEvPKT0_PS4_.kd
    .uniform_work_group_size: 1
    .uses_dynamic_stack: false
    .vgpr_count:     11
    .vgpr_spill_count: 0
    .wavefront_size: 32
    .workgroup_processor_mode: 1
  - .args:
      - .address_space:  global
        .offset:         0
        .size:           8
        .value_kind:     global_buffer
      - .address_space:  global
        .offset:         8
        .size:           8
        .value_kind:     global_buffer
      - .offset:         16
        .size:           4
        .value_kind:     hidden_block_count_x
      - .offset:         20
        .size:           4
        .value_kind:     hidden_block_count_y
      - .offset:         24
        .size:           4
        .value_kind:     hidden_block_count_z
      - .offset:         28
        .size:           2
        .value_kind:     hidden_group_size_x
      - .offset:         30
        .size:           2
        .value_kind:     hidden_group_size_y
      - .offset:         32
        .size:           2
        .value_kind:     hidden_group_size_z
      - .offset:         34
        .size:           2
        .value_kind:     hidden_remainder_x
      - .offset:         36
        .size:           2
        .value_kind:     hidden_remainder_y
      - .offset:         38
        .size:           2
        .value_kind:     hidden_remainder_z
      - .offset:         56
        .size:           8
        .value_kind:     hidden_global_offset_x
      - .offset:         64
        .size:           8
        .value_kind:     hidden_global_offset_y
      - .offset:         72
        .size:           8
        .value_kind:     hidden_global_offset_z
      - .offset:         80
        .size:           2
        .value_kind:     hidden_grid_dims
    .group_segment_fixed_size: 1024
    .kernarg_segment_align: 8
    .kernarg_segment_size: 272
    .language:       OpenCL C
    .language_version:
      - 2
      - 0
    .max_flat_workgroup_size: 256
    .name:           _Z6kernelI6reduceILN6hipcub20BlockReduceAlgorithmE2EEiLj256ELj2ELj100EEvPKT0_PS4_
    .private_segment_fixed_size: 0
    .sgpr_count:     18
    .sgpr_spill_count: 0
    .symbol:         _Z6kernelI6reduceILN6hipcub20BlockReduceAlgorithmE2EEiLj256ELj2ELj100EEvPKT0_PS4_.kd
    .uniform_work_group_size: 1
    .uses_dynamic_stack: false
    .vgpr_count:     12
    .vgpr_spill_count: 0
    .wavefront_size: 32
    .workgroup_processor_mode: 1
  - .args:
      - .address_space:  global
        .offset:         0
        .size:           8
        .value_kind:     global_buffer
      - .address_space:  global
        .offset:         8
        .size:           8
        .value_kind:     global_buffer
      - .offset:         16
        .size:           4
        .value_kind:     hidden_block_count_x
      - .offset:         20
        .size:           4
        .value_kind:     hidden_block_count_y
      - .offset:         24
        .size:           4
        .value_kind:     hidden_block_count_z
      - .offset:         28
        .size:           2
        .value_kind:     hidden_group_size_x
      - .offset:         30
        .size:           2
        .value_kind:     hidden_group_size_y
      - .offset:         32
        .size:           2
        .value_kind:     hidden_group_size_z
      - .offset:         34
        .size:           2
        .value_kind:     hidden_remainder_x
      - .offset:         36
        .size:           2
        .value_kind:     hidden_remainder_y
      - .offset:         38
        .size:           2
        .value_kind:     hidden_remainder_z
      - .offset:         56
        .size:           8
        .value_kind:     hidden_global_offset_x
      - .offset:         64
        .size:           8
        .value_kind:     hidden_global_offset_y
      - .offset:         72
        .size:           8
        .value_kind:     hidden_global_offset_z
      - .offset:         80
        .size:           2
        .value_kind:     hidden_grid_dims
    .group_segment_fixed_size: 1024
    .kernarg_segment_align: 8
    .kernarg_segment_size: 272
    .language:       OpenCL C
    .language_version:
      - 2
      - 0
    .max_flat_workgroup_size: 256
    .name:           _Z6kernelI6reduceILN6hipcub20BlockReduceAlgorithmE2EEiLj256ELj3ELj100EEvPKT0_PS4_
    .private_segment_fixed_size: 0
    .sgpr_count:     18
    .sgpr_spill_count: 0
    .symbol:         _Z6kernelI6reduceILN6hipcub20BlockReduceAlgorithmE2EEiLj256ELj3ELj100EEvPKT0_PS4_.kd
    .uniform_work_group_size: 1
    .uses_dynamic_stack: false
    .vgpr_count:     13
    .vgpr_spill_count: 0
    .wavefront_size: 32
    .workgroup_processor_mode: 1
  - .args:
      - .address_space:  global
        .offset:         0
        .size:           8
        .value_kind:     global_buffer
      - .address_space:  global
        .offset:         8
        .size:           8
        .value_kind:     global_buffer
      - .offset:         16
        .size:           4
        .value_kind:     hidden_block_count_x
      - .offset:         20
        .size:           4
        .value_kind:     hidden_block_count_y
      - .offset:         24
        .size:           4
        .value_kind:     hidden_block_count_z
      - .offset:         28
        .size:           2
        .value_kind:     hidden_group_size_x
      - .offset:         30
        .size:           2
        .value_kind:     hidden_group_size_y
      - .offset:         32
        .size:           2
        .value_kind:     hidden_group_size_z
      - .offset:         34
        .size:           2
        .value_kind:     hidden_remainder_x
      - .offset:         36
        .size:           2
        .value_kind:     hidden_remainder_y
      - .offset:         38
        .size:           2
        .value_kind:     hidden_remainder_z
      - .offset:         56
        .size:           8
        .value_kind:     hidden_global_offset_x
      - .offset:         64
        .size:           8
        .value_kind:     hidden_global_offset_y
      - .offset:         72
        .size:           8
        .value_kind:     hidden_global_offset_z
      - .offset:         80
        .size:           2
        .value_kind:     hidden_grid_dims
    .group_segment_fixed_size: 1024
    .kernarg_segment_align: 8
    .kernarg_segment_size: 272
    .language:       OpenCL C
    .language_version:
      - 2
      - 0
    .max_flat_workgroup_size: 256
    .name:           _Z6kernelI6reduceILN6hipcub20BlockReduceAlgorithmE2EEiLj256ELj4ELj100EEvPKT0_PS4_
    .private_segment_fixed_size: 0
    .sgpr_count:     18
    .sgpr_spill_count: 0
    .symbol:         _Z6kernelI6reduceILN6hipcub20BlockReduceAlgorithmE2EEiLj256ELj4ELj100EEvPKT0_PS4_.kd
    .uniform_work_group_size: 1
    .uses_dynamic_stack: false
    .vgpr_count:     14
    .vgpr_spill_count: 0
    .wavefront_size: 32
    .workgroup_processor_mode: 1
  - .args:
      - .address_space:  global
        .offset:         0
        .size:           8
        .value_kind:     global_buffer
      - .address_space:  global
        .offset:         8
        .size:           8
        .value_kind:     global_buffer
      - .offset:         16
        .size:           4
        .value_kind:     hidden_block_count_x
      - .offset:         20
        .size:           4
        .value_kind:     hidden_block_count_y
      - .offset:         24
        .size:           4
        .value_kind:     hidden_block_count_z
      - .offset:         28
        .size:           2
        .value_kind:     hidden_group_size_x
      - .offset:         30
        .size:           2
        .value_kind:     hidden_group_size_y
      - .offset:         32
        .size:           2
        .value_kind:     hidden_group_size_z
      - .offset:         34
        .size:           2
        .value_kind:     hidden_remainder_x
      - .offset:         36
        .size:           2
        .value_kind:     hidden_remainder_y
      - .offset:         38
        .size:           2
        .value_kind:     hidden_remainder_z
      - .offset:         56
        .size:           8
        .value_kind:     hidden_global_offset_x
      - .offset:         64
        .size:           8
        .value_kind:     hidden_global_offset_y
      - .offset:         72
        .size:           8
        .value_kind:     hidden_global_offset_z
      - .offset:         80
        .size:           2
        .value_kind:     hidden_grid_dims
    .group_segment_fixed_size: 1024
    .kernarg_segment_align: 8
    .kernarg_segment_size: 272
    .language:       OpenCL C
    .language_version:
      - 2
      - 0
    .max_flat_workgroup_size: 256
    .name:           _Z6kernelI6reduceILN6hipcub20BlockReduceAlgorithmE2EEiLj256ELj8ELj100EEvPKT0_PS4_
    .private_segment_fixed_size: 0
    .sgpr_count:     18
    .sgpr_spill_count: 0
    .symbol:         _Z6kernelI6reduceILN6hipcub20BlockReduceAlgorithmE2EEiLj256ELj8ELj100EEvPKT0_PS4_.kd
    .uniform_work_group_size: 1
    .uses_dynamic_stack: false
    .vgpr_count:     18
    .vgpr_spill_count: 0
    .wavefront_size: 32
    .workgroup_processor_mode: 1
  - .args:
      - .address_space:  global
        .offset:         0
        .size:           8
        .value_kind:     global_buffer
      - .address_space:  global
        .offset:         8
        .size:           8
        .value_kind:     global_buffer
      - .offset:         16
        .size:           4
        .value_kind:     hidden_block_count_x
      - .offset:         20
        .size:           4
        .value_kind:     hidden_block_count_y
      - .offset:         24
        .size:           4
        .value_kind:     hidden_block_count_z
      - .offset:         28
        .size:           2
        .value_kind:     hidden_group_size_x
      - .offset:         30
        .size:           2
        .value_kind:     hidden_group_size_y
      - .offset:         32
        .size:           2
        .value_kind:     hidden_group_size_z
      - .offset:         34
        .size:           2
        .value_kind:     hidden_remainder_x
      - .offset:         36
        .size:           2
        .value_kind:     hidden_remainder_y
      - .offset:         38
        .size:           2
        .value_kind:     hidden_remainder_z
      - .offset:         56
        .size:           8
        .value_kind:     hidden_global_offset_x
      - .offset:         64
        .size:           8
        .value_kind:     hidden_global_offset_y
      - .offset:         72
        .size:           8
        .value_kind:     hidden_global_offset_z
      - .offset:         80
        .size:           2
        .value_kind:     hidden_grid_dims
    .group_segment_fixed_size: 1024
    .kernarg_segment_align: 8
    .kernarg_segment_size: 272
    .language:       OpenCL C
    .language_version:
      - 2
      - 0
    .max_flat_workgroup_size: 256
    .name:           _Z6kernelI6reduceILN6hipcub20BlockReduceAlgorithmE2EEiLj256ELj11ELj100EEvPKT0_PS4_
    .private_segment_fixed_size: 0
    .sgpr_count:     18
    .sgpr_spill_count: 0
    .symbol:         _Z6kernelI6reduceILN6hipcub20BlockReduceAlgorithmE2EEiLj256ELj11ELj100EEvPKT0_PS4_.kd
    .uniform_work_group_size: 1
    .uses_dynamic_stack: false
    .vgpr_count:     25
    .vgpr_spill_count: 0
    .wavefront_size: 32
    .workgroup_processor_mode: 1
  - .args:
      - .address_space:  global
        .offset:         0
        .size:           8
        .value_kind:     global_buffer
      - .address_space:  global
        .offset:         8
        .size:           8
        .value_kind:     global_buffer
      - .offset:         16
        .size:           4
        .value_kind:     hidden_block_count_x
      - .offset:         20
        .size:           4
        .value_kind:     hidden_block_count_y
      - .offset:         24
        .size:           4
        .value_kind:     hidden_block_count_z
      - .offset:         28
        .size:           2
        .value_kind:     hidden_group_size_x
      - .offset:         30
        .size:           2
        .value_kind:     hidden_group_size_y
      - .offset:         32
        .size:           2
        .value_kind:     hidden_group_size_z
      - .offset:         34
        .size:           2
        .value_kind:     hidden_remainder_x
      - .offset:         36
        .size:           2
        .value_kind:     hidden_remainder_y
      - .offset:         38
        .size:           2
        .value_kind:     hidden_remainder_z
      - .offset:         56
        .size:           8
        .value_kind:     hidden_global_offset_x
      - .offset:         64
        .size:           8
        .value_kind:     hidden_global_offset_y
      - .offset:         72
        .size:           8
        .value_kind:     hidden_global_offset_z
      - .offset:         80
        .size:           2
        .value_kind:     hidden_grid_dims
    .group_segment_fixed_size: 1024
    .kernarg_segment_align: 8
    .kernarg_segment_size: 272
    .language:       OpenCL C
    .language_version:
      - 2
      - 0
    .max_flat_workgroup_size: 256
    .name:           _Z6kernelI6reduceILN6hipcub20BlockReduceAlgorithmE2EEiLj256ELj16ELj100EEvPKT0_PS4_
    .private_segment_fixed_size: 0
    .sgpr_count:     18
    .sgpr_spill_count: 0
    .symbol:         _Z6kernelI6reduceILN6hipcub20BlockReduceAlgorithmE2EEiLj256ELj16ELj100EEvPKT0_PS4_.kd
    .uniform_work_group_size: 1
    .uses_dynamic_stack: false
    .vgpr_count:     17
    .vgpr_spill_count: 0
    .wavefront_size: 32
    .workgroup_processor_mode: 1
  - .args:
      - .address_space:  global
        .offset:         0
        .size:           8
        .value_kind:     global_buffer
      - .address_space:  global
        .offset:         8
        .size:           8
        .value_kind:     global_buffer
      - .offset:         16
        .size:           4
        .value_kind:     hidden_block_count_x
      - .offset:         20
        .size:           4
        .value_kind:     hidden_block_count_y
      - .offset:         24
        .size:           4
        .value_kind:     hidden_block_count_z
      - .offset:         28
        .size:           2
        .value_kind:     hidden_group_size_x
      - .offset:         30
        .size:           2
        .value_kind:     hidden_group_size_y
      - .offset:         32
        .size:           2
        .value_kind:     hidden_group_size_z
      - .offset:         34
        .size:           2
        .value_kind:     hidden_remainder_x
      - .offset:         36
        .size:           2
        .value_kind:     hidden_remainder_y
      - .offset:         38
        .size:           2
        .value_kind:     hidden_remainder_z
      - .offset:         56
        .size:           8
        .value_kind:     hidden_global_offset_x
      - .offset:         64
        .size:           8
        .value_kind:     hidden_global_offset_y
      - .offset:         72
        .size:           8
        .value_kind:     hidden_global_offset_z
      - .offset:         80
        .size:           2
        .value_kind:     hidden_grid_dims
    .group_segment_fixed_size: 1024
    .kernarg_segment_align: 8
    .kernarg_segment_size: 272
    .language:       OpenCL C
    .language_version:
      - 2
      - 0
    .max_flat_workgroup_size: 256
    .name:           _Z6kernelI6reduceILN6hipcub20BlockReduceAlgorithmE2EEfLj256ELj1ELj100EEvPKT0_PS4_
    .private_segment_fixed_size: 0
    .sgpr_count:     18
    .sgpr_spill_count: 0
    .symbol:         _Z6kernelI6reduceILN6hipcub20BlockReduceAlgorithmE2EEfLj256ELj1ELj100EEvPKT0_PS4_.kd
    .uniform_work_group_size: 1
    .uses_dynamic_stack: false
    .vgpr_count:     10
    .vgpr_spill_count: 0
    .wavefront_size: 32
    .workgroup_processor_mode: 1
  - .args:
      - .address_space:  global
        .offset:         0
        .size:           8
        .value_kind:     global_buffer
      - .address_space:  global
        .offset:         8
        .size:           8
        .value_kind:     global_buffer
      - .offset:         16
        .size:           4
        .value_kind:     hidden_block_count_x
      - .offset:         20
        .size:           4
        .value_kind:     hidden_block_count_y
      - .offset:         24
        .size:           4
        .value_kind:     hidden_block_count_z
      - .offset:         28
        .size:           2
        .value_kind:     hidden_group_size_x
      - .offset:         30
        .size:           2
        .value_kind:     hidden_group_size_y
      - .offset:         32
        .size:           2
        .value_kind:     hidden_group_size_z
      - .offset:         34
        .size:           2
        .value_kind:     hidden_remainder_x
      - .offset:         36
        .size:           2
        .value_kind:     hidden_remainder_y
      - .offset:         38
        .size:           2
        .value_kind:     hidden_remainder_z
      - .offset:         56
        .size:           8
        .value_kind:     hidden_global_offset_x
      - .offset:         64
        .size:           8
        .value_kind:     hidden_global_offset_y
      - .offset:         72
        .size:           8
        .value_kind:     hidden_global_offset_z
      - .offset:         80
        .size:           2
        .value_kind:     hidden_grid_dims
    .group_segment_fixed_size: 1024
    .kernarg_segment_align: 8
    .kernarg_segment_size: 272
    .language:       OpenCL C
    .language_version:
      - 2
      - 0
    .max_flat_workgroup_size: 256
    .name:           _Z6kernelI6reduceILN6hipcub20BlockReduceAlgorithmE2EEfLj256ELj2ELj100EEvPKT0_PS4_
    .private_segment_fixed_size: 0
    .sgpr_count:     18
    .sgpr_spill_count: 0
    .symbol:         _Z6kernelI6reduceILN6hipcub20BlockReduceAlgorithmE2EEfLj256ELj2ELj100EEvPKT0_PS4_.kd
    .uniform_work_group_size: 1
    .uses_dynamic_stack: false
    .vgpr_count:     11
    .vgpr_spill_count: 0
    .wavefront_size: 32
    .workgroup_processor_mode: 1
  - .args:
      - .address_space:  global
        .offset:         0
        .size:           8
        .value_kind:     global_buffer
      - .address_space:  global
        .offset:         8
        .size:           8
        .value_kind:     global_buffer
      - .offset:         16
        .size:           4
        .value_kind:     hidden_block_count_x
      - .offset:         20
        .size:           4
        .value_kind:     hidden_block_count_y
      - .offset:         24
        .size:           4
        .value_kind:     hidden_block_count_z
      - .offset:         28
        .size:           2
        .value_kind:     hidden_group_size_x
      - .offset:         30
        .size:           2
        .value_kind:     hidden_group_size_y
      - .offset:         32
        .size:           2
        .value_kind:     hidden_group_size_z
      - .offset:         34
        .size:           2
        .value_kind:     hidden_remainder_x
      - .offset:         36
        .size:           2
        .value_kind:     hidden_remainder_y
      - .offset:         38
        .size:           2
        .value_kind:     hidden_remainder_z
      - .offset:         56
        .size:           8
        .value_kind:     hidden_global_offset_x
      - .offset:         64
        .size:           8
        .value_kind:     hidden_global_offset_y
      - .offset:         72
        .size:           8
        .value_kind:     hidden_global_offset_z
      - .offset:         80
        .size:           2
        .value_kind:     hidden_grid_dims
    .group_segment_fixed_size: 1024
    .kernarg_segment_align: 8
    .kernarg_segment_size: 272
    .language:       OpenCL C
    .language_version:
      - 2
      - 0
    .max_flat_workgroup_size: 256
    .name:           _Z6kernelI6reduceILN6hipcub20BlockReduceAlgorithmE2EEfLj256ELj3ELj100EEvPKT0_PS4_
    .private_segment_fixed_size: 0
    .sgpr_count:     18
    .sgpr_spill_count: 0
    .symbol:         _Z6kernelI6reduceILN6hipcub20BlockReduceAlgorithmE2EEfLj256ELj3ELj100EEvPKT0_PS4_.kd
    .uniform_work_group_size: 1
    .uses_dynamic_stack: false
    .vgpr_count:     12
    .vgpr_spill_count: 0
    .wavefront_size: 32
    .workgroup_processor_mode: 1
  - .args:
      - .address_space:  global
        .offset:         0
        .size:           8
        .value_kind:     global_buffer
      - .address_space:  global
        .offset:         8
        .size:           8
        .value_kind:     global_buffer
      - .offset:         16
        .size:           4
        .value_kind:     hidden_block_count_x
      - .offset:         20
        .size:           4
        .value_kind:     hidden_block_count_y
      - .offset:         24
        .size:           4
        .value_kind:     hidden_block_count_z
      - .offset:         28
        .size:           2
        .value_kind:     hidden_group_size_x
      - .offset:         30
        .size:           2
        .value_kind:     hidden_group_size_y
      - .offset:         32
        .size:           2
        .value_kind:     hidden_group_size_z
      - .offset:         34
        .size:           2
        .value_kind:     hidden_remainder_x
      - .offset:         36
        .size:           2
        .value_kind:     hidden_remainder_y
      - .offset:         38
        .size:           2
        .value_kind:     hidden_remainder_z
      - .offset:         56
        .size:           8
        .value_kind:     hidden_global_offset_x
      - .offset:         64
        .size:           8
        .value_kind:     hidden_global_offset_y
      - .offset:         72
        .size:           8
        .value_kind:     hidden_global_offset_z
      - .offset:         80
        .size:           2
        .value_kind:     hidden_grid_dims
    .group_segment_fixed_size: 1024
    .kernarg_segment_align: 8
    .kernarg_segment_size: 272
    .language:       OpenCL C
    .language_version:
      - 2
      - 0
    .max_flat_workgroup_size: 256
    .name:           _Z6kernelI6reduceILN6hipcub20BlockReduceAlgorithmE2EEfLj256ELj4ELj100EEvPKT0_PS4_
    .private_segment_fixed_size: 0
    .sgpr_count:     18
    .sgpr_spill_count: 0
    .symbol:         _Z6kernelI6reduceILN6hipcub20BlockReduceAlgorithmE2EEfLj256ELj4ELj100EEvPKT0_PS4_.kd
    .uniform_work_group_size: 1
    .uses_dynamic_stack: false
    .vgpr_count:     13
    .vgpr_spill_count: 0
    .wavefront_size: 32
    .workgroup_processor_mode: 1
  - .args:
      - .address_space:  global
        .offset:         0
        .size:           8
        .value_kind:     global_buffer
      - .address_space:  global
        .offset:         8
        .size:           8
        .value_kind:     global_buffer
      - .offset:         16
        .size:           4
        .value_kind:     hidden_block_count_x
      - .offset:         20
        .size:           4
        .value_kind:     hidden_block_count_y
      - .offset:         24
        .size:           4
        .value_kind:     hidden_block_count_z
      - .offset:         28
        .size:           2
        .value_kind:     hidden_group_size_x
      - .offset:         30
        .size:           2
        .value_kind:     hidden_group_size_y
      - .offset:         32
        .size:           2
        .value_kind:     hidden_group_size_z
      - .offset:         34
        .size:           2
        .value_kind:     hidden_remainder_x
      - .offset:         36
        .size:           2
        .value_kind:     hidden_remainder_y
      - .offset:         38
        .size:           2
        .value_kind:     hidden_remainder_z
      - .offset:         56
        .size:           8
        .value_kind:     hidden_global_offset_x
      - .offset:         64
        .size:           8
        .value_kind:     hidden_global_offset_y
      - .offset:         72
        .size:           8
        .value_kind:     hidden_global_offset_z
      - .offset:         80
        .size:           2
        .value_kind:     hidden_grid_dims
    .group_segment_fixed_size: 1024
    .kernarg_segment_align: 8
    .kernarg_segment_size: 272
    .language:       OpenCL C
    .language_version:
      - 2
      - 0
    .max_flat_workgroup_size: 256
    .name:           _Z6kernelI6reduceILN6hipcub20BlockReduceAlgorithmE2EEfLj256ELj8ELj100EEvPKT0_PS4_
    .private_segment_fixed_size: 0
    .sgpr_count:     18
    .sgpr_spill_count: 0
    .symbol:         _Z6kernelI6reduceILN6hipcub20BlockReduceAlgorithmE2EEfLj256ELj8ELj100EEvPKT0_PS4_.kd
    .uniform_work_group_size: 1
    .uses_dynamic_stack: false
    .vgpr_count:     17
    .vgpr_spill_count: 0
    .wavefront_size: 32
    .workgroup_processor_mode: 1
  - .args:
      - .address_space:  global
        .offset:         0
        .size:           8
        .value_kind:     global_buffer
      - .address_space:  global
        .offset:         8
        .size:           8
        .value_kind:     global_buffer
      - .offset:         16
        .size:           4
        .value_kind:     hidden_block_count_x
      - .offset:         20
        .size:           4
        .value_kind:     hidden_block_count_y
      - .offset:         24
        .size:           4
        .value_kind:     hidden_block_count_z
      - .offset:         28
        .size:           2
        .value_kind:     hidden_group_size_x
      - .offset:         30
        .size:           2
        .value_kind:     hidden_group_size_y
      - .offset:         32
        .size:           2
        .value_kind:     hidden_group_size_z
      - .offset:         34
        .size:           2
        .value_kind:     hidden_remainder_x
      - .offset:         36
        .size:           2
        .value_kind:     hidden_remainder_y
      - .offset:         38
        .size:           2
        .value_kind:     hidden_remainder_z
      - .offset:         56
        .size:           8
        .value_kind:     hidden_global_offset_x
      - .offset:         64
        .size:           8
        .value_kind:     hidden_global_offset_y
      - .offset:         72
        .size:           8
        .value_kind:     hidden_global_offset_z
      - .offset:         80
        .size:           2
        .value_kind:     hidden_grid_dims
    .group_segment_fixed_size: 1024
    .kernarg_segment_align: 8
    .kernarg_segment_size: 272
    .language:       OpenCL C
    .language_version:
      - 2
      - 0
    .max_flat_workgroup_size: 256
    .name:           _Z6kernelI6reduceILN6hipcub20BlockReduceAlgorithmE2EEfLj256ELj11ELj100EEvPKT0_PS4_
    .private_segment_fixed_size: 0
    .sgpr_count:     18
    .sgpr_spill_count: 0
    .symbol:         _Z6kernelI6reduceILN6hipcub20BlockReduceAlgorithmE2EEfLj256ELj11ELj100EEvPKT0_PS4_.kd
    .uniform_work_group_size: 1
    .uses_dynamic_stack: false
    .vgpr_count:     27
    .vgpr_spill_count: 0
    .wavefront_size: 32
    .workgroup_processor_mode: 1
  - .args:
      - .address_space:  global
        .offset:         0
        .size:           8
        .value_kind:     global_buffer
      - .address_space:  global
        .offset:         8
        .size:           8
        .value_kind:     global_buffer
      - .offset:         16
        .size:           4
        .value_kind:     hidden_block_count_x
      - .offset:         20
        .size:           4
        .value_kind:     hidden_block_count_y
      - .offset:         24
        .size:           4
        .value_kind:     hidden_block_count_z
      - .offset:         28
        .size:           2
        .value_kind:     hidden_group_size_x
      - .offset:         30
        .size:           2
        .value_kind:     hidden_group_size_y
      - .offset:         32
        .size:           2
        .value_kind:     hidden_group_size_z
      - .offset:         34
        .size:           2
        .value_kind:     hidden_remainder_x
      - .offset:         36
        .size:           2
        .value_kind:     hidden_remainder_y
      - .offset:         38
        .size:           2
        .value_kind:     hidden_remainder_z
      - .offset:         56
        .size:           8
        .value_kind:     hidden_global_offset_x
      - .offset:         64
        .size:           8
        .value_kind:     hidden_global_offset_y
      - .offset:         72
        .size:           8
        .value_kind:     hidden_global_offset_z
      - .offset:         80
        .size:           2
        .value_kind:     hidden_grid_dims
    .group_segment_fixed_size: 1024
    .kernarg_segment_align: 8
    .kernarg_segment_size: 272
    .language:       OpenCL C
    .language_version:
      - 2
      - 0
    .max_flat_workgroup_size: 256
    .name:           _Z6kernelI6reduceILN6hipcub20BlockReduceAlgorithmE2EEfLj256ELj16ELj100EEvPKT0_PS4_
    .private_segment_fixed_size: 0
    .sgpr_count:     18
    .sgpr_spill_count: 0
    .symbol:         _Z6kernelI6reduceILN6hipcub20BlockReduceAlgorithmE2EEfLj256ELj16ELj100EEvPKT0_PS4_.kd
    .uniform_work_group_size: 1
    .uses_dynamic_stack: false
    .vgpr_count:     25
    .vgpr_spill_count: 0
    .wavefront_size: 32
    .workgroup_processor_mode: 1
  - .args:
      - .address_space:  global
        .offset:         0
        .size:           8
        .value_kind:     global_buffer
      - .address_space:  global
        .offset:         8
        .size:           8
        .value_kind:     global_buffer
      - .offset:         16
        .size:           4
        .value_kind:     hidden_block_count_x
      - .offset:         20
        .size:           4
        .value_kind:     hidden_block_count_y
      - .offset:         24
        .size:           4
        .value_kind:     hidden_block_count_z
      - .offset:         28
        .size:           2
        .value_kind:     hidden_group_size_x
      - .offset:         30
        .size:           2
        .value_kind:     hidden_group_size_y
      - .offset:         32
        .size:           2
        .value_kind:     hidden_group_size_z
      - .offset:         34
        .size:           2
        .value_kind:     hidden_remainder_x
      - .offset:         36
        .size:           2
        .value_kind:     hidden_remainder_y
      - .offset:         38
        .size:           2
        .value_kind:     hidden_remainder_z
      - .offset:         56
        .size:           8
        .value_kind:     hidden_global_offset_x
      - .offset:         64
        .size:           8
        .value_kind:     hidden_global_offset_y
      - .offset:         72
        .size:           8
        .value_kind:     hidden_global_offset_z
      - .offset:         80
        .size:           2
        .value_kind:     hidden_grid_dims
    .group_segment_fixed_size: 2048
    .kernarg_segment_align: 8
    .kernarg_segment_size: 272
    .language:       OpenCL C
    .language_version:
      - 2
      - 0
    .max_flat_workgroup_size: 256
    .name:           _Z6kernelI6reduceILN6hipcub20BlockReduceAlgorithmE2EEdLj256ELj1ELj100EEvPKT0_PS4_
    .private_segment_fixed_size: 0
    .sgpr_count:     18
    .sgpr_spill_count: 0
    .symbol:         _Z6kernelI6reduceILN6hipcub20BlockReduceAlgorithmE2EEdLj256ELj1ELj100EEvPKT0_PS4_.kd
    .uniform_work_group_size: 1
    .uses_dynamic_stack: false
    .vgpr_count:     13
    .vgpr_spill_count: 0
    .wavefront_size: 32
    .workgroup_processor_mode: 1
  - .args:
      - .address_space:  global
        .offset:         0
        .size:           8
        .value_kind:     global_buffer
      - .address_space:  global
        .offset:         8
        .size:           8
        .value_kind:     global_buffer
      - .offset:         16
        .size:           4
        .value_kind:     hidden_block_count_x
      - .offset:         20
        .size:           4
        .value_kind:     hidden_block_count_y
      - .offset:         24
        .size:           4
        .value_kind:     hidden_block_count_z
      - .offset:         28
        .size:           2
        .value_kind:     hidden_group_size_x
      - .offset:         30
        .size:           2
        .value_kind:     hidden_group_size_y
      - .offset:         32
        .size:           2
        .value_kind:     hidden_group_size_z
      - .offset:         34
        .size:           2
        .value_kind:     hidden_remainder_x
      - .offset:         36
        .size:           2
        .value_kind:     hidden_remainder_y
      - .offset:         38
        .size:           2
        .value_kind:     hidden_remainder_z
      - .offset:         56
        .size:           8
        .value_kind:     hidden_global_offset_x
      - .offset:         64
        .size:           8
        .value_kind:     hidden_global_offset_y
      - .offset:         72
        .size:           8
        .value_kind:     hidden_global_offset_z
      - .offset:         80
        .size:           2
        .value_kind:     hidden_grid_dims
    .group_segment_fixed_size: 2048
    .kernarg_segment_align: 8
    .kernarg_segment_size: 272
    .language:       OpenCL C
    .language_version:
      - 2
      - 0
    .max_flat_workgroup_size: 256
    .name:           _Z6kernelI6reduceILN6hipcub20BlockReduceAlgorithmE2EEdLj256ELj2ELj100EEvPKT0_PS4_
    .private_segment_fixed_size: 0
    .sgpr_count:     18
    .sgpr_spill_count: 0
    .symbol:         _Z6kernelI6reduceILN6hipcub20BlockReduceAlgorithmE2EEdLj256ELj2ELj100EEvPKT0_PS4_.kd
    .uniform_work_group_size: 1
    .uses_dynamic_stack: false
    .vgpr_count:     15
    .vgpr_spill_count: 0
    .wavefront_size: 32
    .workgroup_processor_mode: 1
  - .args:
      - .address_space:  global
        .offset:         0
        .size:           8
        .value_kind:     global_buffer
      - .address_space:  global
        .offset:         8
        .size:           8
        .value_kind:     global_buffer
      - .offset:         16
        .size:           4
        .value_kind:     hidden_block_count_x
      - .offset:         20
        .size:           4
        .value_kind:     hidden_block_count_y
      - .offset:         24
        .size:           4
        .value_kind:     hidden_block_count_z
      - .offset:         28
        .size:           2
        .value_kind:     hidden_group_size_x
      - .offset:         30
        .size:           2
        .value_kind:     hidden_group_size_y
      - .offset:         32
        .size:           2
        .value_kind:     hidden_group_size_z
      - .offset:         34
        .size:           2
        .value_kind:     hidden_remainder_x
      - .offset:         36
        .size:           2
        .value_kind:     hidden_remainder_y
      - .offset:         38
        .size:           2
        .value_kind:     hidden_remainder_z
      - .offset:         56
        .size:           8
        .value_kind:     hidden_global_offset_x
      - .offset:         64
        .size:           8
        .value_kind:     hidden_global_offset_y
      - .offset:         72
        .size:           8
        .value_kind:     hidden_global_offset_z
      - .offset:         80
        .size:           2
        .value_kind:     hidden_grid_dims
    .group_segment_fixed_size: 2048
    .kernarg_segment_align: 8
    .kernarg_segment_size: 272
    .language:       OpenCL C
    .language_version:
      - 2
      - 0
    .max_flat_workgroup_size: 256
    .name:           _Z6kernelI6reduceILN6hipcub20BlockReduceAlgorithmE2EEdLj256ELj3ELj100EEvPKT0_PS4_
    .private_segment_fixed_size: 0
    .sgpr_count:     18
    .sgpr_spill_count: 0
    .symbol:         _Z6kernelI6reduceILN6hipcub20BlockReduceAlgorithmE2EEdLj256ELj3ELj100EEvPKT0_PS4_.kd
    .uniform_work_group_size: 1
    .uses_dynamic_stack: false
    .vgpr_count:     17
    .vgpr_spill_count: 0
    .wavefront_size: 32
    .workgroup_processor_mode: 1
  - .args:
      - .address_space:  global
        .offset:         0
        .size:           8
        .value_kind:     global_buffer
      - .address_space:  global
        .offset:         8
        .size:           8
        .value_kind:     global_buffer
      - .offset:         16
        .size:           4
        .value_kind:     hidden_block_count_x
      - .offset:         20
        .size:           4
        .value_kind:     hidden_block_count_y
      - .offset:         24
        .size:           4
        .value_kind:     hidden_block_count_z
      - .offset:         28
        .size:           2
        .value_kind:     hidden_group_size_x
      - .offset:         30
        .size:           2
        .value_kind:     hidden_group_size_y
      - .offset:         32
        .size:           2
        .value_kind:     hidden_group_size_z
      - .offset:         34
        .size:           2
        .value_kind:     hidden_remainder_x
      - .offset:         36
        .size:           2
        .value_kind:     hidden_remainder_y
      - .offset:         38
        .size:           2
        .value_kind:     hidden_remainder_z
      - .offset:         56
        .size:           8
        .value_kind:     hidden_global_offset_x
      - .offset:         64
        .size:           8
        .value_kind:     hidden_global_offset_y
      - .offset:         72
        .size:           8
        .value_kind:     hidden_global_offset_z
      - .offset:         80
        .size:           2
        .value_kind:     hidden_grid_dims
    .group_segment_fixed_size: 2048
    .kernarg_segment_align: 8
    .kernarg_segment_size: 272
    .language:       OpenCL C
    .language_version:
      - 2
      - 0
    .max_flat_workgroup_size: 256
    .name:           _Z6kernelI6reduceILN6hipcub20BlockReduceAlgorithmE2EEdLj256ELj4ELj100EEvPKT0_PS4_
    .private_segment_fixed_size: 0
    .sgpr_count:     18
    .sgpr_spill_count: 0
    .symbol:         _Z6kernelI6reduceILN6hipcub20BlockReduceAlgorithmE2EEdLj256ELj4ELj100EEvPKT0_PS4_.kd
    .uniform_work_group_size: 1
    .uses_dynamic_stack: false
    .vgpr_count:     19
    .vgpr_spill_count: 0
    .wavefront_size: 32
    .workgroup_processor_mode: 1
  - .args:
      - .address_space:  global
        .offset:         0
        .size:           8
        .value_kind:     global_buffer
      - .address_space:  global
        .offset:         8
        .size:           8
        .value_kind:     global_buffer
      - .offset:         16
        .size:           4
        .value_kind:     hidden_block_count_x
      - .offset:         20
        .size:           4
        .value_kind:     hidden_block_count_y
      - .offset:         24
        .size:           4
        .value_kind:     hidden_block_count_z
      - .offset:         28
        .size:           2
        .value_kind:     hidden_group_size_x
      - .offset:         30
        .size:           2
        .value_kind:     hidden_group_size_y
      - .offset:         32
        .size:           2
        .value_kind:     hidden_group_size_z
      - .offset:         34
        .size:           2
        .value_kind:     hidden_remainder_x
      - .offset:         36
        .size:           2
        .value_kind:     hidden_remainder_y
      - .offset:         38
        .size:           2
        .value_kind:     hidden_remainder_z
      - .offset:         56
        .size:           8
        .value_kind:     hidden_global_offset_x
      - .offset:         64
        .size:           8
        .value_kind:     hidden_global_offset_y
      - .offset:         72
        .size:           8
        .value_kind:     hidden_global_offset_z
      - .offset:         80
        .size:           2
        .value_kind:     hidden_grid_dims
    .group_segment_fixed_size: 2048
    .kernarg_segment_align: 8
    .kernarg_segment_size: 272
    .language:       OpenCL C
    .language_version:
      - 2
      - 0
    .max_flat_workgroup_size: 256
    .name:           _Z6kernelI6reduceILN6hipcub20BlockReduceAlgorithmE2EEdLj256ELj8ELj100EEvPKT0_PS4_
    .private_segment_fixed_size: 0
    .sgpr_count:     18
    .sgpr_spill_count: 0
    .symbol:         _Z6kernelI6reduceILN6hipcub20BlockReduceAlgorithmE2EEdLj256ELj8ELj100EEvPKT0_PS4_.kd
    .uniform_work_group_size: 1
    .uses_dynamic_stack: false
    .vgpr_count:     27
    .vgpr_spill_count: 0
    .wavefront_size: 32
    .workgroup_processor_mode: 1
  - .args:
      - .address_space:  global
        .offset:         0
        .size:           8
        .value_kind:     global_buffer
      - .address_space:  global
        .offset:         8
        .size:           8
        .value_kind:     global_buffer
      - .offset:         16
        .size:           4
        .value_kind:     hidden_block_count_x
      - .offset:         20
        .size:           4
        .value_kind:     hidden_block_count_y
      - .offset:         24
        .size:           4
        .value_kind:     hidden_block_count_z
      - .offset:         28
        .size:           2
        .value_kind:     hidden_group_size_x
      - .offset:         30
        .size:           2
        .value_kind:     hidden_group_size_y
      - .offset:         32
        .size:           2
        .value_kind:     hidden_group_size_z
      - .offset:         34
        .size:           2
        .value_kind:     hidden_remainder_x
      - .offset:         36
        .size:           2
        .value_kind:     hidden_remainder_y
      - .offset:         38
        .size:           2
        .value_kind:     hidden_remainder_z
      - .offset:         56
        .size:           8
        .value_kind:     hidden_global_offset_x
      - .offset:         64
        .size:           8
        .value_kind:     hidden_global_offset_y
      - .offset:         72
        .size:           8
        .value_kind:     hidden_global_offset_z
      - .offset:         80
        .size:           2
        .value_kind:     hidden_grid_dims
    .group_segment_fixed_size: 2048
    .kernarg_segment_align: 8
    .kernarg_segment_size: 272
    .language:       OpenCL C
    .language_version:
      - 2
      - 0
    .max_flat_workgroup_size: 256
    .name:           _Z6kernelI6reduceILN6hipcub20BlockReduceAlgorithmE2EEdLj256ELj11ELj100EEvPKT0_PS4_
    .private_segment_fixed_size: 0
    .sgpr_count:     18
    .sgpr_spill_count: 0
    .symbol:         _Z6kernelI6reduceILN6hipcub20BlockReduceAlgorithmE2EEdLj256ELj11ELj100EEvPKT0_PS4_.kd
    .uniform_work_group_size: 1
    .uses_dynamic_stack: false
    .vgpr_count:     33
    .vgpr_spill_count: 0
    .wavefront_size: 32
    .workgroup_processor_mode: 1
  - .args:
      - .address_space:  global
        .offset:         0
        .size:           8
        .value_kind:     global_buffer
      - .address_space:  global
        .offset:         8
        .size:           8
        .value_kind:     global_buffer
      - .offset:         16
        .size:           4
        .value_kind:     hidden_block_count_x
      - .offset:         20
        .size:           4
        .value_kind:     hidden_block_count_y
      - .offset:         24
        .size:           4
        .value_kind:     hidden_block_count_z
      - .offset:         28
        .size:           2
        .value_kind:     hidden_group_size_x
      - .offset:         30
        .size:           2
        .value_kind:     hidden_group_size_y
      - .offset:         32
        .size:           2
        .value_kind:     hidden_group_size_z
      - .offset:         34
        .size:           2
        .value_kind:     hidden_remainder_x
      - .offset:         36
        .size:           2
        .value_kind:     hidden_remainder_y
      - .offset:         38
        .size:           2
        .value_kind:     hidden_remainder_z
      - .offset:         56
        .size:           8
        .value_kind:     hidden_global_offset_x
      - .offset:         64
        .size:           8
        .value_kind:     hidden_global_offset_y
      - .offset:         72
        .size:           8
        .value_kind:     hidden_global_offset_z
      - .offset:         80
        .size:           2
        .value_kind:     hidden_grid_dims
    .group_segment_fixed_size: 2048
    .kernarg_segment_align: 8
    .kernarg_segment_size: 272
    .language:       OpenCL C
    .language_version:
      - 2
      - 0
    .max_flat_workgroup_size: 256
    .name:           _Z6kernelI6reduceILN6hipcub20BlockReduceAlgorithmE2EEdLj256ELj16ELj100EEvPKT0_PS4_
    .private_segment_fixed_size: 0
    .sgpr_count:     18
    .sgpr_spill_count: 0
    .symbol:         _Z6kernelI6reduceILN6hipcub20BlockReduceAlgorithmE2EEdLj256ELj16ELj100EEvPKT0_PS4_.kd
    .uniform_work_group_size: 1
    .uses_dynamic_stack: false
    .vgpr_count:     42
    .vgpr_spill_count: 0
    .wavefront_size: 32
    .workgroup_processor_mode: 1
  - .args:
      - .address_space:  global
        .offset:         0
        .size:           8
        .value_kind:     global_buffer
      - .address_space:  global
        .offset:         8
        .size:           8
        .value_kind:     global_buffer
      - .offset:         16
        .size:           4
        .value_kind:     hidden_block_count_x
      - .offset:         20
        .size:           4
        .value_kind:     hidden_block_count_y
      - .offset:         24
        .size:           4
        .value_kind:     hidden_block_count_z
      - .offset:         28
        .size:           2
        .value_kind:     hidden_group_size_x
      - .offset:         30
        .size:           2
        .value_kind:     hidden_group_size_y
      - .offset:         32
        .size:           2
        .value_kind:     hidden_group_size_z
      - .offset:         34
        .size:           2
        .value_kind:     hidden_remainder_x
      - .offset:         36
        .size:           2
        .value_kind:     hidden_remainder_y
      - .offset:         38
        .size:           2
        .value_kind:     hidden_remainder_z
      - .offset:         56
        .size:           8
        .value_kind:     hidden_global_offset_x
      - .offset:         64
        .size:           8
        .value_kind:     hidden_global_offset_y
      - .offset:         72
        .size:           8
        .value_kind:     hidden_global_offset_z
      - .offset:         80
        .size:           2
        .value_kind:     hidden_grid_dims
    .group_segment_fixed_size: 256
    .kernarg_segment_align: 8
    .kernarg_segment_size: 272
    .language:       OpenCL C
    .language_version:
      - 2
      - 0
    .max_flat_workgroup_size: 256
    .name:           _Z6kernelI6reduceILN6hipcub20BlockReduceAlgorithmE2EEaLj256ELj1ELj100EEvPKT0_PS4_
    .private_segment_fixed_size: 0
    .sgpr_count:     16
    .sgpr_spill_count: 0
    .symbol:         _Z6kernelI6reduceILN6hipcub20BlockReduceAlgorithmE2EEaLj256ELj1ELj100EEvPKT0_PS4_.kd
    .uniform_work_group_size: 1
    .uses_dynamic_stack: false
    .vgpr_count:     10
    .vgpr_spill_count: 0
    .wavefront_size: 32
    .workgroup_processor_mode: 1
  - .args:
      - .address_space:  global
        .offset:         0
        .size:           8
        .value_kind:     global_buffer
      - .address_space:  global
        .offset:         8
        .size:           8
        .value_kind:     global_buffer
      - .offset:         16
        .size:           4
        .value_kind:     hidden_block_count_x
      - .offset:         20
        .size:           4
        .value_kind:     hidden_block_count_y
      - .offset:         24
        .size:           4
        .value_kind:     hidden_block_count_z
      - .offset:         28
        .size:           2
        .value_kind:     hidden_group_size_x
      - .offset:         30
        .size:           2
        .value_kind:     hidden_group_size_y
      - .offset:         32
        .size:           2
        .value_kind:     hidden_group_size_z
      - .offset:         34
        .size:           2
        .value_kind:     hidden_remainder_x
      - .offset:         36
        .size:           2
        .value_kind:     hidden_remainder_y
      - .offset:         38
        .size:           2
        .value_kind:     hidden_remainder_z
      - .offset:         56
        .size:           8
        .value_kind:     hidden_global_offset_x
      - .offset:         64
        .size:           8
        .value_kind:     hidden_global_offset_y
      - .offset:         72
        .size:           8
        .value_kind:     hidden_global_offset_z
      - .offset:         80
        .size:           2
        .value_kind:     hidden_grid_dims
    .group_segment_fixed_size: 256
    .kernarg_segment_align: 8
    .kernarg_segment_size: 272
    .language:       OpenCL C
    .language_version:
      - 2
      - 0
    .max_flat_workgroup_size: 256
    .name:           _Z6kernelI6reduceILN6hipcub20BlockReduceAlgorithmE2EEaLj256ELj2ELj100EEvPKT0_PS4_
    .private_segment_fixed_size: 0
    .sgpr_count:     16
    .sgpr_spill_count: 0
    .symbol:         _Z6kernelI6reduceILN6hipcub20BlockReduceAlgorithmE2EEaLj256ELj2ELj100EEvPKT0_PS4_.kd
    .uniform_work_group_size: 1
    .uses_dynamic_stack: false
    .vgpr_count:     11
    .vgpr_spill_count: 0
    .wavefront_size: 32
    .workgroup_processor_mode: 1
  - .args:
      - .address_space:  global
        .offset:         0
        .size:           8
        .value_kind:     global_buffer
      - .address_space:  global
        .offset:         8
        .size:           8
        .value_kind:     global_buffer
      - .offset:         16
        .size:           4
        .value_kind:     hidden_block_count_x
      - .offset:         20
        .size:           4
        .value_kind:     hidden_block_count_y
      - .offset:         24
        .size:           4
        .value_kind:     hidden_block_count_z
      - .offset:         28
        .size:           2
        .value_kind:     hidden_group_size_x
      - .offset:         30
        .size:           2
        .value_kind:     hidden_group_size_y
      - .offset:         32
        .size:           2
        .value_kind:     hidden_group_size_z
      - .offset:         34
        .size:           2
        .value_kind:     hidden_remainder_x
      - .offset:         36
        .size:           2
        .value_kind:     hidden_remainder_y
      - .offset:         38
        .size:           2
        .value_kind:     hidden_remainder_z
      - .offset:         56
        .size:           8
        .value_kind:     hidden_global_offset_x
      - .offset:         64
        .size:           8
        .value_kind:     hidden_global_offset_y
      - .offset:         72
        .size:           8
        .value_kind:     hidden_global_offset_z
      - .offset:         80
        .size:           2
        .value_kind:     hidden_grid_dims
    .group_segment_fixed_size: 256
    .kernarg_segment_align: 8
    .kernarg_segment_size: 272
    .language:       OpenCL C
    .language_version:
      - 2
      - 0
    .max_flat_workgroup_size: 256
    .name:           _Z6kernelI6reduceILN6hipcub20BlockReduceAlgorithmE2EEaLj256ELj3ELj100EEvPKT0_PS4_
    .private_segment_fixed_size: 0
    .sgpr_count:     16
    .sgpr_spill_count: 0
    .symbol:         _Z6kernelI6reduceILN6hipcub20BlockReduceAlgorithmE2EEaLj256ELj3ELj100EEvPKT0_PS4_.kd
    .uniform_work_group_size: 1
    .uses_dynamic_stack: false
    .vgpr_count:     12
    .vgpr_spill_count: 0
    .wavefront_size: 32
    .workgroup_processor_mode: 1
  - .args:
      - .address_space:  global
        .offset:         0
        .size:           8
        .value_kind:     global_buffer
      - .address_space:  global
        .offset:         8
        .size:           8
        .value_kind:     global_buffer
      - .offset:         16
        .size:           4
        .value_kind:     hidden_block_count_x
      - .offset:         20
        .size:           4
        .value_kind:     hidden_block_count_y
      - .offset:         24
        .size:           4
        .value_kind:     hidden_block_count_z
      - .offset:         28
        .size:           2
        .value_kind:     hidden_group_size_x
      - .offset:         30
        .size:           2
        .value_kind:     hidden_group_size_y
      - .offset:         32
        .size:           2
        .value_kind:     hidden_group_size_z
      - .offset:         34
        .size:           2
        .value_kind:     hidden_remainder_x
      - .offset:         36
        .size:           2
        .value_kind:     hidden_remainder_y
      - .offset:         38
        .size:           2
        .value_kind:     hidden_remainder_z
      - .offset:         56
        .size:           8
        .value_kind:     hidden_global_offset_x
      - .offset:         64
        .size:           8
        .value_kind:     hidden_global_offset_y
      - .offset:         72
        .size:           8
        .value_kind:     hidden_global_offset_z
      - .offset:         80
        .size:           2
        .value_kind:     hidden_grid_dims
    .group_segment_fixed_size: 256
    .kernarg_segment_align: 8
    .kernarg_segment_size: 272
    .language:       OpenCL C
    .language_version:
      - 2
      - 0
    .max_flat_workgroup_size: 256
    .name:           _Z6kernelI6reduceILN6hipcub20BlockReduceAlgorithmE2EEaLj256ELj4ELj100EEvPKT0_PS4_
    .private_segment_fixed_size: 0
    .sgpr_count:     16
    .sgpr_spill_count: 0
    .symbol:         _Z6kernelI6reduceILN6hipcub20BlockReduceAlgorithmE2EEaLj256ELj4ELj100EEvPKT0_PS4_.kd
    .uniform_work_group_size: 1
    .uses_dynamic_stack: false
    .vgpr_count:     11
    .vgpr_spill_count: 0
    .wavefront_size: 32
    .workgroup_processor_mode: 1
  - .args:
      - .address_space:  global
        .offset:         0
        .size:           8
        .value_kind:     global_buffer
      - .address_space:  global
        .offset:         8
        .size:           8
        .value_kind:     global_buffer
      - .offset:         16
        .size:           4
        .value_kind:     hidden_block_count_x
      - .offset:         20
        .size:           4
        .value_kind:     hidden_block_count_y
      - .offset:         24
        .size:           4
        .value_kind:     hidden_block_count_z
      - .offset:         28
        .size:           2
        .value_kind:     hidden_group_size_x
      - .offset:         30
        .size:           2
        .value_kind:     hidden_group_size_y
      - .offset:         32
        .size:           2
        .value_kind:     hidden_group_size_z
      - .offset:         34
        .size:           2
        .value_kind:     hidden_remainder_x
      - .offset:         36
        .size:           2
        .value_kind:     hidden_remainder_y
      - .offset:         38
        .size:           2
        .value_kind:     hidden_remainder_z
      - .offset:         56
        .size:           8
        .value_kind:     hidden_global_offset_x
      - .offset:         64
        .size:           8
        .value_kind:     hidden_global_offset_y
      - .offset:         72
        .size:           8
        .value_kind:     hidden_global_offset_z
      - .offset:         80
        .size:           2
        .value_kind:     hidden_grid_dims
    .group_segment_fixed_size: 256
    .kernarg_segment_align: 8
    .kernarg_segment_size: 272
    .language:       OpenCL C
    .language_version:
      - 2
      - 0
    .max_flat_workgroup_size: 256
    .name:           _Z6kernelI6reduceILN6hipcub20BlockReduceAlgorithmE2EEaLj256ELj8ELj100EEvPKT0_PS4_
    .private_segment_fixed_size: 0
    .sgpr_count:     16
    .sgpr_spill_count: 0
    .symbol:         _Z6kernelI6reduceILN6hipcub20BlockReduceAlgorithmE2EEaLj256ELj8ELj100EEvPKT0_PS4_.kd
    .uniform_work_group_size: 1
    .uses_dynamic_stack: false
    .vgpr_count:     12
    .vgpr_spill_count: 0
    .wavefront_size: 32
    .workgroup_processor_mode: 1
  - .args:
      - .address_space:  global
        .offset:         0
        .size:           8
        .value_kind:     global_buffer
      - .address_space:  global
        .offset:         8
        .size:           8
        .value_kind:     global_buffer
      - .offset:         16
        .size:           4
        .value_kind:     hidden_block_count_x
      - .offset:         20
        .size:           4
        .value_kind:     hidden_block_count_y
      - .offset:         24
        .size:           4
        .value_kind:     hidden_block_count_z
      - .offset:         28
        .size:           2
        .value_kind:     hidden_group_size_x
      - .offset:         30
        .size:           2
        .value_kind:     hidden_group_size_y
      - .offset:         32
        .size:           2
        .value_kind:     hidden_group_size_z
      - .offset:         34
        .size:           2
        .value_kind:     hidden_remainder_x
      - .offset:         36
        .size:           2
        .value_kind:     hidden_remainder_y
      - .offset:         38
        .size:           2
        .value_kind:     hidden_remainder_z
      - .offset:         56
        .size:           8
        .value_kind:     hidden_global_offset_x
      - .offset:         64
        .size:           8
        .value_kind:     hidden_global_offset_y
      - .offset:         72
        .size:           8
        .value_kind:     hidden_global_offset_z
      - .offset:         80
        .size:           2
        .value_kind:     hidden_grid_dims
    .group_segment_fixed_size: 256
    .kernarg_segment_align: 8
    .kernarg_segment_size: 272
    .language:       OpenCL C
    .language_version:
      - 2
      - 0
    .max_flat_workgroup_size: 256
    .name:           _Z6kernelI6reduceILN6hipcub20BlockReduceAlgorithmE2EEaLj256ELj11ELj100EEvPKT0_PS4_
    .private_segment_fixed_size: 0
    .sgpr_count:     16
    .sgpr_spill_count: 0
    .symbol:         _Z6kernelI6reduceILN6hipcub20BlockReduceAlgorithmE2EEaLj256ELj11ELj100EEvPKT0_PS4_.kd
    .uniform_work_group_size: 1
    .uses_dynamic_stack: false
    .vgpr_count:     18
    .vgpr_spill_count: 0
    .wavefront_size: 32
    .workgroup_processor_mode: 1
  - .args:
      - .address_space:  global
        .offset:         0
        .size:           8
        .value_kind:     global_buffer
      - .address_space:  global
        .offset:         8
        .size:           8
        .value_kind:     global_buffer
      - .offset:         16
        .size:           4
        .value_kind:     hidden_block_count_x
      - .offset:         20
        .size:           4
        .value_kind:     hidden_block_count_y
      - .offset:         24
        .size:           4
        .value_kind:     hidden_block_count_z
      - .offset:         28
        .size:           2
        .value_kind:     hidden_group_size_x
      - .offset:         30
        .size:           2
        .value_kind:     hidden_group_size_y
      - .offset:         32
        .size:           2
        .value_kind:     hidden_group_size_z
      - .offset:         34
        .size:           2
        .value_kind:     hidden_remainder_x
      - .offset:         36
        .size:           2
        .value_kind:     hidden_remainder_y
      - .offset:         38
        .size:           2
        .value_kind:     hidden_remainder_z
      - .offset:         56
        .size:           8
        .value_kind:     hidden_global_offset_x
      - .offset:         64
        .size:           8
        .value_kind:     hidden_global_offset_y
      - .offset:         72
        .size:           8
        .value_kind:     hidden_global_offset_z
      - .offset:         80
        .size:           2
        .value_kind:     hidden_grid_dims
    .group_segment_fixed_size: 256
    .kernarg_segment_align: 8
    .kernarg_segment_size: 272
    .language:       OpenCL C
    .language_version:
      - 2
      - 0
    .max_flat_workgroup_size: 256
    .name:           _Z6kernelI6reduceILN6hipcub20BlockReduceAlgorithmE2EEaLj256ELj16ELj100EEvPKT0_PS4_
    .private_segment_fixed_size: 0
    .sgpr_count:     16
    .sgpr_spill_count: 0
    .symbol:         _Z6kernelI6reduceILN6hipcub20BlockReduceAlgorithmE2EEaLj256ELj16ELj100EEvPKT0_PS4_.kd
    .uniform_work_group_size: 1
    .uses_dynamic_stack: false
    .vgpr_count:     17
    .vgpr_spill_count: 0
    .wavefront_size: 32
    .workgroup_processor_mode: 1
  - .args:
      - .address_space:  global
        .offset:         0
        .size:           8
        .value_kind:     global_buffer
      - .address_space:  global
        .offset:         8
        .size:           8
        .value_kind:     global_buffer
      - .offset:         16
        .size:           4
        .value_kind:     hidden_block_count_x
      - .offset:         20
        .size:           4
        .value_kind:     hidden_block_count_y
      - .offset:         24
        .size:           4
        .value_kind:     hidden_block_count_z
      - .offset:         28
        .size:           2
        .value_kind:     hidden_group_size_x
      - .offset:         30
        .size:           2
        .value_kind:     hidden_group_size_y
      - .offset:         32
        .size:           2
        .value_kind:     hidden_group_size_z
      - .offset:         34
        .size:           2
        .value_kind:     hidden_remainder_x
      - .offset:         36
        .size:           2
        .value_kind:     hidden_remainder_y
      - .offset:         38
        .size:           2
        .value_kind:     hidden_remainder_z
      - .offset:         56
        .size:           8
        .value_kind:     hidden_global_offset_x
      - .offset:         64
        .size:           8
        .value_kind:     hidden_global_offset_y
      - .offset:         72
        .size:           8
        .value_kind:     hidden_global_offset_z
      - .offset:         80
        .size:           2
        .value_kind:     hidden_grid_dims
    .group_segment_fixed_size: 256
    .kernarg_segment_align: 8
    .kernarg_segment_size: 272
    .language:       OpenCL C
    .language_version:
      - 2
      - 0
    .max_flat_workgroup_size: 256
    .name:           _Z6kernelI6reduceILN6hipcub20BlockReduceAlgorithmE2EEhLj256ELj1ELj100EEvPKT0_PS4_
    .private_segment_fixed_size: 0
    .sgpr_count:     16
    .sgpr_spill_count: 0
    .symbol:         _Z6kernelI6reduceILN6hipcub20BlockReduceAlgorithmE2EEhLj256ELj1ELj100EEvPKT0_PS4_.kd
    .uniform_work_group_size: 1
    .uses_dynamic_stack: false
    .vgpr_count:     10
    .vgpr_spill_count: 0
    .wavefront_size: 32
    .workgroup_processor_mode: 1
  - .args:
      - .address_space:  global
        .offset:         0
        .size:           8
        .value_kind:     global_buffer
      - .address_space:  global
        .offset:         8
        .size:           8
        .value_kind:     global_buffer
      - .offset:         16
        .size:           4
        .value_kind:     hidden_block_count_x
      - .offset:         20
        .size:           4
        .value_kind:     hidden_block_count_y
      - .offset:         24
        .size:           4
        .value_kind:     hidden_block_count_z
      - .offset:         28
        .size:           2
        .value_kind:     hidden_group_size_x
      - .offset:         30
        .size:           2
        .value_kind:     hidden_group_size_y
      - .offset:         32
        .size:           2
        .value_kind:     hidden_group_size_z
      - .offset:         34
        .size:           2
        .value_kind:     hidden_remainder_x
      - .offset:         36
        .size:           2
        .value_kind:     hidden_remainder_y
      - .offset:         38
        .size:           2
        .value_kind:     hidden_remainder_z
      - .offset:         56
        .size:           8
        .value_kind:     hidden_global_offset_x
      - .offset:         64
        .size:           8
        .value_kind:     hidden_global_offset_y
      - .offset:         72
        .size:           8
        .value_kind:     hidden_global_offset_z
      - .offset:         80
        .size:           2
        .value_kind:     hidden_grid_dims
    .group_segment_fixed_size: 256
    .kernarg_segment_align: 8
    .kernarg_segment_size: 272
    .language:       OpenCL C
    .language_version:
      - 2
      - 0
    .max_flat_workgroup_size: 256
    .name:           _Z6kernelI6reduceILN6hipcub20BlockReduceAlgorithmE2EEhLj256ELj2ELj100EEvPKT0_PS4_
    .private_segment_fixed_size: 0
    .sgpr_count:     16
    .sgpr_spill_count: 0
    .symbol:         _Z6kernelI6reduceILN6hipcub20BlockReduceAlgorithmE2EEhLj256ELj2ELj100EEvPKT0_PS4_.kd
    .uniform_work_group_size: 1
    .uses_dynamic_stack: false
    .vgpr_count:     11
    .vgpr_spill_count: 0
    .wavefront_size: 32
    .workgroup_processor_mode: 1
  - .args:
      - .address_space:  global
        .offset:         0
        .size:           8
        .value_kind:     global_buffer
      - .address_space:  global
        .offset:         8
        .size:           8
        .value_kind:     global_buffer
      - .offset:         16
        .size:           4
        .value_kind:     hidden_block_count_x
      - .offset:         20
        .size:           4
        .value_kind:     hidden_block_count_y
      - .offset:         24
        .size:           4
        .value_kind:     hidden_block_count_z
      - .offset:         28
        .size:           2
        .value_kind:     hidden_group_size_x
      - .offset:         30
        .size:           2
        .value_kind:     hidden_group_size_y
      - .offset:         32
        .size:           2
        .value_kind:     hidden_group_size_z
      - .offset:         34
        .size:           2
        .value_kind:     hidden_remainder_x
      - .offset:         36
        .size:           2
        .value_kind:     hidden_remainder_y
      - .offset:         38
        .size:           2
        .value_kind:     hidden_remainder_z
      - .offset:         56
        .size:           8
        .value_kind:     hidden_global_offset_x
      - .offset:         64
        .size:           8
        .value_kind:     hidden_global_offset_y
      - .offset:         72
        .size:           8
        .value_kind:     hidden_global_offset_z
      - .offset:         80
        .size:           2
        .value_kind:     hidden_grid_dims
    .group_segment_fixed_size: 256
    .kernarg_segment_align: 8
    .kernarg_segment_size: 272
    .language:       OpenCL C
    .language_version:
      - 2
      - 0
    .max_flat_workgroup_size: 256
    .name:           _Z6kernelI6reduceILN6hipcub20BlockReduceAlgorithmE2EEhLj256ELj3ELj100EEvPKT0_PS4_
    .private_segment_fixed_size: 0
    .sgpr_count:     16
    .sgpr_spill_count: 0
    .symbol:         _Z6kernelI6reduceILN6hipcub20BlockReduceAlgorithmE2EEhLj256ELj3ELj100EEvPKT0_PS4_.kd
    .uniform_work_group_size: 1
    .uses_dynamic_stack: false
    .vgpr_count:     12
    .vgpr_spill_count: 0
    .wavefront_size: 32
    .workgroup_processor_mode: 1
  - .args:
      - .address_space:  global
        .offset:         0
        .size:           8
        .value_kind:     global_buffer
      - .address_space:  global
        .offset:         8
        .size:           8
        .value_kind:     global_buffer
      - .offset:         16
        .size:           4
        .value_kind:     hidden_block_count_x
      - .offset:         20
        .size:           4
        .value_kind:     hidden_block_count_y
      - .offset:         24
        .size:           4
        .value_kind:     hidden_block_count_z
      - .offset:         28
        .size:           2
        .value_kind:     hidden_group_size_x
      - .offset:         30
        .size:           2
        .value_kind:     hidden_group_size_y
      - .offset:         32
        .size:           2
        .value_kind:     hidden_group_size_z
      - .offset:         34
        .size:           2
        .value_kind:     hidden_remainder_x
      - .offset:         36
        .size:           2
        .value_kind:     hidden_remainder_y
      - .offset:         38
        .size:           2
        .value_kind:     hidden_remainder_z
      - .offset:         56
        .size:           8
        .value_kind:     hidden_global_offset_x
      - .offset:         64
        .size:           8
        .value_kind:     hidden_global_offset_y
      - .offset:         72
        .size:           8
        .value_kind:     hidden_global_offset_z
      - .offset:         80
        .size:           2
        .value_kind:     hidden_grid_dims
    .group_segment_fixed_size: 256
    .kernarg_segment_align: 8
    .kernarg_segment_size: 272
    .language:       OpenCL C
    .language_version:
      - 2
      - 0
    .max_flat_workgroup_size: 256
    .name:           _Z6kernelI6reduceILN6hipcub20BlockReduceAlgorithmE2EEhLj256ELj4ELj100EEvPKT0_PS4_
    .private_segment_fixed_size: 0
    .sgpr_count:     16
    .sgpr_spill_count: 0
    .symbol:         _Z6kernelI6reduceILN6hipcub20BlockReduceAlgorithmE2EEhLj256ELj4ELj100EEvPKT0_PS4_.kd
    .uniform_work_group_size: 1
    .uses_dynamic_stack: false
    .vgpr_count:     11
    .vgpr_spill_count: 0
    .wavefront_size: 32
    .workgroup_processor_mode: 1
  - .args:
      - .address_space:  global
        .offset:         0
        .size:           8
        .value_kind:     global_buffer
      - .address_space:  global
        .offset:         8
        .size:           8
        .value_kind:     global_buffer
      - .offset:         16
        .size:           4
        .value_kind:     hidden_block_count_x
      - .offset:         20
        .size:           4
        .value_kind:     hidden_block_count_y
      - .offset:         24
        .size:           4
        .value_kind:     hidden_block_count_z
      - .offset:         28
        .size:           2
        .value_kind:     hidden_group_size_x
      - .offset:         30
        .size:           2
        .value_kind:     hidden_group_size_y
      - .offset:         32
        .size:           2
        .value_kind:     hidden_group_size_z
      - .offset:         34
        .size:           2
        .value_kind:     hidden_remainder_x
      - .offset:         36
        .size:           2
        .value_kind:     hidden_remainder_y
      - .offset:         38
        .size:           2
        .value_kind:     hidden_remainder_z
      - .offset:         56
        .size:           8
        .value_kind:     hidden_global_offset_x
      - .offset:         64
        .size:           8
        .value_kind:     hidden_global_offset_y
      - .offset:         72
        .size:           8
        .value_kind:     hidden_global_offset_z
      - .offset:         80
        .size:           2
        .value_kind:     hidden_grid_dims
    .group_segment_fixed_size: 256
    .kernarg_segment_align: 8
    .kernarg_segment_size: 272
    .language:       OpenCL C
    .language_version:
      - 2
      - 0
    .max_flat_workgroup_size: 256
    .name:           _Z6kernelI6reduceILN6hipcub20BlockReduceAlgorithmE2EEhLj256ELj8ELj100EEvPKT0_PS4_
    .private_segment_fixed_size: 0
    .sgpr_count:     16
    .sgpr_spill_count: 0
    .symbol:         _Z6kernelI6reduceILN6hipcub20BlockReduceAlgorithmE2EEhLj256ELj8ELj100EEvPKT0_PS4_.kd
    .uniform_work_group_size: 1
    .uses_dynamic_stack: false
    .vgpr_count:     12
    .vgpr_spill_count: 0
    .wavefront_size: 32
    .workgroup_processor_mode: 1
  - .args:
      - .address_space:  global
        .offset:         0
        .size:           8
        .value_kind:     global_buffer
      - .address_space:  global
        .offset:         8
        .size:           8
        .value_kind:     global_buffer
      - .offset:         16
        .size:           4
        .value_kind:     hidden_block_count_x
      - .offset:         20
        .size:           4
        .value_kind:     hidden_block_count_y
      - .offset:         24
        .size:           4
        .value_kind:     hidden_block_count_z
      - .offset:         28
        .size:           2
        .value_kind:     hidden_group_size_x
      - .offset:         30
        .size:           2
        .value_kind:     hidden_group_size_y
      - .offset:         32
        .size:           2
        .value_kind:     hidden_group_size_z
      - .offset:         34
        .size:           2
        .value_kind:     hidden_remainder_x
      - .offset:         36
        .size:           2
        .value_kind:     hidden_remainder_y
      - .offset:         38
        .size:           2
        .value_kind:     hidden_remainder_z
      - .offset:         56
        .size:           8
        .value_kind:     hidden_global_offset_x
      - .offset:         64
        .size:           8
        .value_kind:     hidden_global_offset_y
      - .offset:         72
        .size:           8
        .value_kind:     hidden_global_offset_z
      - .offset:         80
        .size:           2
        .value_kind:     hidden_grid_dims
    .group_segment_fixed_size: 256
    .kernarg_segment_align: 8
    .kernarg_segment_size: 272
    .language:       OpenCL C
    .language_version:
      - 2
      - 0
    .max_flat_workgroup_size: 256
    .name:           _Z6kernelI6reduceILN6hipcub20BlockReduceAlgorithmE2EEhLj256ELj11ELj100EEvPKT0_PS4_
    .private_segment_fixed_size: 0
    .sgpr_count:     16
    .sgpr_spill_count: 0
    .symbol:         _Z6kernelI6reduceILN6hipcub20BlockReduceAlgorithmE2EEhLj256ELj11ELj100EEvPKT0_PS4_.kd
    .uniform_work_group_size: 1
    .uses_dynamic_stack: false
    .vgpr_count:     18
    .vgpr_spill_count: 0
    .wavefront_size: 32
    .workgroup_processor_mode: 1
  - .args:
      - .address_space:  global
        .offset:         0
        .size:           8
        .value_kind:     global_buffer
      - .address_space:  global
        .offset:         8
        .size:           8
        .value_kind:     global_buffer
      - .offset:         16
        .size:           4
        .value_kind:     hidden_block_count_x
      - .offset:         20
        .size:           4
        .value_kind:     hidden_block_count_y
      - .offset:         24
        .size:           4
        .value_kind:     hidden_block_count_z
      - .offset:         28
        .size:           2
        .value_kind:     hidden_group_size_x
      - .offset:         30
        .size:           2
        .value_kind:     hidden_group_size_y
      - .offset:         32
        .size:           2
        .value_kind:     hidden_group_size_z
      - .offset:         34
        .size:           2
        .value_kind:     hidden_remainder_x
      - .offset:         36
        .size:           2
        .value_kind:     hidden_remainder_y
      - .offset:         38
        .size:           2
        .value_kind:     hidden_remainder_z
      - .offset:         56
        .size:           8
        .value_kind:     hidden_global_offset_x
      - .offset:         64
        .size:           8
        .value_kind:     hidden_global_offset_y
      - .offset:         72
        .size:           8
        .value_kind:     hidden_global_offset_z
      - .offset:         80
        .size:           2
        .value_kind:     hidden_grid_dims
    .group_segment_fixed_size: 256
    .kernarg_segment_align: 8
    .kernarg_segment_size: 272
    .language:       OpenCL C
    .language_version:
      - 2
      - 0
    .max_flat_workgroup_size: 256
    .name:           _Z6kernelI6reduceILN6hipcub20BlockReduceAlgorithmE2EEhLj256ELj16ELj100EEvPKT0_PS4_
    .private_segment_fixed_size: 0
    .sgpr_count:     16
    .sgpr_spill_count: 0
    .symbol:         _Z6kernelI6reduceILN6hipcub20BlockReduceAlgorithmE2EEhLj256ELj16ELj100EEvPKT0_PS4_.kd
    .uniform_work_group_size: 1
    .uses_dynamic_stack: false
    .vgpr_count:     17
    .vgpr_spill_count: 0
    .wavefront_size: 32
    .workgroup_processor_mode: 1
amdhsa.target:   amdgcn-amd-amdhsa--gfx1100
amdhsa.version:
  - 1
  - 2
...

	.end_amdgpu_metadata
